;; amdgpu-corpus repo=ROCm/rocFFT kind=compiled arch=gfx1201 opt=O3
	.text
	.amdgcn_target "amdgcn-amd-amdhsa--gfx1201"
	.amdhsa_code_object_version 6
	.protected	bluestein_single_fwd_len900_dim1_dp_op_CI_CI ; -- Begin function bluestein_single_fwd_len900_dim1_dp_op_CI_CI
	.globl	bluestein_single_fwd_len900_dim1_dp_op_CI_CI
	.p2align	8
	.type	bluestein_single_fwd_len900_dim1_dp_op_CI_CI,@function
bluestein_single_fwd_len900_dim1_dp_op_CI_CI: ; @bluestein_single_fwd_len900_dim1_dp_op_CI_CI
; %bb.0:
	s_load_b128 s[16:19], s[0:1], 0x28
	v_mul_u32_u24_e32 v1, 0x2d9, v0
	v_mov_b32_e32 v189, 0
	s_mov_b32 s2, exec_lo
	s_delay_alu instid0(VALU_DEP_2) | instskip(NEXT) | instid1(VALU_DEP_1)
	v_lshrrev_b32_e32 v40, 16, v1
	v_lshl_add_u32 v188, ttmp9, 1, v40
	s_wait_kmcnt 0x0
	s_delay_alu instid0(VALU_DEP_1)
	v_cmpx_gt_u64_e64 s[16:17], v[188:189]
	s_cbranch_execz .LBB0_18
; %bb.1:
	s_clause 0x1
	s_load_b128 s[4:7], s[0:1], 0x18
	s_load_b128 s[8:11], s[0:1], 0x0
	v_mul_lo_u16 v1, 0x5a, v40
	s_mov_b32 s16, 0x4755a5e
	s_mov_b32 s17, 0x3fe2cf23
	;; [unrolled: 1-line block ×4, first 2 shown]
	v_sub_nc_u16 v84, v0, v1
	v_and_b32_e32 v40, 1, v40
	s_delay_alu instid0(VALU_DEP_2) | instskip(NEXT) | instid1(VALU_DEP_1)
	v_and_b32_e32 v189, 0xffff, v84
	v_lshlrev_b32_e32 v201, 4, v189
	s_wait_kmcnt 0x0
	s_load_b128 s[12:15], s[4:5], 0x0
	s_wait_kmcnt 0x0
	v_mad_co_u64_u32 v[0:1], null, s14, v188, 0
	v_mad_co_u64_u32 v[2:3], null, s12, v189, 0
	s_mul_u64 s[2:3], s[12:13], 0x5a0
	s_mov_b32 s14, s16
	s_delay_alu instid0(VALU_DEP_1) | instskip(SKIP_1) | instid1(VALU_DEP_1)
	v_mad_co_u64_u32 v[4:5], null, s15, v188, v[1:2]
	s_mov_b32 s15, 0xbfe2cf23
	v_mad_co_u64_u32 v[5:6], null, s13, v189, v[3:4]
	v_mov_b32_e32 v1, v4
	s_mov_b32 s12, 0x134454ff
	s_mov_b32 s13, 0x3fee6f0e
	s_delay_alu instid0(VALU_DEP_1) | instskip(NEXT) | instid1(VALU_DEP_3)
	v_lshlrev_b64_e32 v[0:1], 4, v[0:1]
	v_mov_b32_e32 v3, v5
	s_delay_alu instid0(VALU_DEP_2) | instskip(NEXT) | instid1(VALU_DEP_2)
	v_add_co_u32 v10, vcc_lo, s18, v0
	v_lshlrev_b64_e32 v[8:9], 4, v[2:3]
	s_delay_alu instid0(VALU_DEP_4)
	v_add_co_ci_u32_e32 v11, vcc_lo, s19, v1, vcc_lo
	s_clause 0x1
	global_load_b128 v[0:3], v201, s[8:9]
	global_load_b128 v[4:7], v201, s[8:9] offset:1440
	s_mov_b32 s18, 0x372fe950
	s_mov_b32 s19, 0x3fd3c6ef
	v_add_co_u32 v32, vcc_lo, v10, v8
	s_wait_alu 0xfffd
	v_add_co_ci_u32_e32 v33, vcc_lo, v11, v9, vcc_lo
	s_clause 0x1
	global_load_b128 v[8:11], v201, s[8:9] offset:2880
	global_load_b128 v[12:15], v201, s[8:9] offset:4320
	v_add_co_u32 v34, vcc_lo, v32, s2
	s_wait_alu 0xfffd
	v_add_co_ci_u32_e32 v35, vcc_lo, s3, v33, vcc_lo
	s_clause 0x1
	global_load_b128 v[16:19], v201, s[8:9] offset:5760
	global_load_b128 v[20:23], v201, s[8:9] offset:7200
	;; [unrolled: 6-line block ×3, first 2 shown]
	v_add_co_u32 v38, vcc_lo, v36, s2
	s_wait_alu 0xfffd
	v_add_co_ci_u32_e32 v39, vcc_lo, s3, v37, vcc_lo
	s_clause 0x1
	global_load_b128 v[41:44], v[32:33], off
	global_load_b128 v[45:48], v[34:35], off
	v_add_co_u32 v57, vcc_lo, v38, s2
	s_wait_alu 0xfffd
	v_add_co_ci_u32_e32 v58, vcc_lo, s3, v39, vcc_lo
	s_clause 0x1
	global_load_b128 v[49:52], v[36:37], off
	global_load_b128 v[53:56], v[38:39], off
	v_add_co_u32 v32, vcc_lo, v57, s2
	s_wait_alu 0xfffd
	v_add_co_ci_u32_e32 v33, vcc_lo, s3, v58, vcc_lo
	global_load_b128 v[57:60], v[57:58], off
	v_add_co_u32 v34, vcc_lo, v32, s2
	s_wait_alu 0xfffd
	v_add_co_ci_u32_e32 v35, vcc_lo, s3, v33, vcc_lo
	global_load_b128 v[61:64], v[32:33], off
	v_add_co_u32 v36, vcc_lo, v34, s2
	s_wait_alu 0xfffd
	v_add_co_ci_u32_e32 v37, vcc_lo, s3, v35, vcc_lo
	global_load_b128 v[65:68], v[34:35], off
	v_add_co_u32 v32, vcc_lo, v36, s2
	s_wait_alu 0xfffd
	v_add_co_ci_u32_e32 v33, vcc_lo, s3, v37, vcc_lo
	s_delay_alu instid0(VALU_DEP_2) | instskip(SKIP_1) | instid1(VALU_DEP_2)
	v_add_co_u32 v77, vcc_lo, v32, s2
	s_wait_alu 0xfffd
	v_add_co_ci_u32_e32 v78, vcc_lo, s3, v33, vcc_lo
	global_load_b128 v[69:72], v[36:37], off
	global_load_b128 v[73:76], v[32:33], off
	s_clause 0x1
	global_load_b128 v[32:35], v201, s[8:9] offset:11520
	global_load_b128 v[36:39], v201, s[8:9] offset:12960
	global_load_b128 v[77:80], v[77:78], off
	v_cmp_eq_u32_e32 vcc_lo, 1, v40
	s_load_b128 s[4:7], s[6:7], 0x0
	s_mov_b32 s3, 0xbfee6f0e
	s_mov_b32 s2, s12
	v_cndmask_b32_e64 v40, 0, 0x384, vcc_lo
	v_cmp_gt_u16_e32 vcc_lo, 30, v84
	s_delay_alu instid0(VALU_DEP_2) | instskip(NEXT) | instid1(VALU_DEP_1)
	v_lshlrev_b32_e32 v200, 4, v40
	v_add_nc_u32_e32 v199, v200, v201
	s_wait_loadcnt 0xb
	v_mul_f64_e32 v[81:82], v[43:44], v[2:3]
	v_mul_f64_e32 v[85:86], v[41:42], v[2:3]
	s_wait_loadcnt 0xa
	v_mul_f64_e32 v[87:88], v[47:48], v[6:7]
	v_mul_f64_e32 v[89:90], v[45:46], v[6:7]
	;; [unrolled: 3-line block ×10, first 2 shown]
	v_fma_f64 v[41:42], v[41:42], v[0:1], v[81:82]
	v_fma_f64 v[43:44], v[43:44], v[0:1], -v[85:86]
	v_fma_f64 v[45:46], v[45:46], v[4:5], v[87:88]
	v_fma_f64 v[47:48], v[47:48], v[4:5], -v[89:90]
	;; [unrolled: 2-line block ×10, first 2 shown]
	ds_store_b128 v199, v[41:44]
	ds_store_b128 v199, v[45:48] offset:1440
	ds_store_b128 v199, v[49:52] offset:2880
	;; [unrolled: 1-line block ×9, first 2 shown]
	global_wb scope:SCOPE_SE
	s_wait_dscnt 0x0
	s_wait_kmcnt 0x0
	s_barrier_signal -1
	s_barrier_wait -1
	global_inv scope:SCOPE_SE
	ds_load_b128 v[40:43], v199 offset:4320
	ds_load_b128 v[44:47], v199 offset:7200
	;; [unrolled: 1-line block ×5, first 2 shown]
	s_wait_dscnt 0x3
	v_add_f64_e64 v[105:106], v[40:41], -v[44:45]
	s_wait_dscnt 0x2
	v_add_f64_e32 v[60:61], v[44:45], v[48:49]
	s_wait_dscnt 0x1
	v_add_f64_e32 v[62:63], v[42:43], v[54:55]
	v_add_f64_e32 v[64:65], v[40:41], v[52:53]
	;; [unrolled: 1-line block ×3, first 2 shown]
	v_add_f64_e64 v[80:81], v[42:43], -v[54:55]
	v_add_f64_e64 v[85:86], v[44:45], -v[48:49]
	v_add_f64_e64 v[82:83], v[46:47], -v[50:51]
	v_add_f64_e64 v[93:94], v[40:41], -v[52:53]
	v_add_f64_e64 v[107:108], v[52:53], -v[48:49]
	v_add_f64_e64 v[113:114], v[46:47], -v[42:43]
	v_add_f64_e64 v[115:116], v[50:51], -v[54:55]
	v_add_f64_e64 v[109:110], v[44:45], -v[40:41]
	v_add_f64_e64 v[111:112], v[48:49], -v[52:53]
	v_add_f64_e64 v[117:118], v[42:43], -v[46:47]
	v_add_f64_e64 v[125:126], v[54:55], -v[50:51]
	s_wait_dscnt 0x0
	v_add_f64_e32 v[40:41], v[56:57], v[40:41]
	v_add_f64_e32 v[42:43], v[58:59], v[42:43]
	v_fma_f64 v[87:88], v[60:61], -0.5, v[56:57]
	v_fma_f64 v[89:90], v[62:63], -0.5, v[58:59]
	;; [unrolled: 1-line block ×4, first 2 shown]
	ds_load_b128 v[60:63], v199 offset:2880
	ds_load_b128 v[64:67], v199 offset:5760
	;; [unrolled: 1-line block ×4, first 2 shown]
	ds_load_b128 v[76:79], v199
	global_wb scope:SCOPE_SE
	s_wait_dscnt 0x0
	s_barrier_signal -1
	s_barrier_wait -1
	global_inv scope:SCOPE_SE
	v_add_f64_e32 v[40:41], v[40:41], v[44:45]
	v_add_f64_e32 v[42:43], v[42:43], v[46:47]
	;; [unrolled: 1-line block ×8, first 2 shown]
	v_add_f64_e64 v[131:132], v[62:63], -v[74:75]
	v_add_f64_e64 v[133:134], v[66:67], -v[70:71]
	;; [unrolled: 1-line block ×4, first 2 shown]
	v_fma_f64 v[119:120], v[80:81], s[12:13], v[87:88]
	v_fma_f64 v[121:122], v[85:86], s[12:13], v[89:90]
	;; [unrolled: 1-line block ×3, first 2 shown]
	s_wait_alu 0xfffe
	v_fma_f64 v[91:92], v[82:83], s[2:3], v[91:92]
	v_fma_f64 v[89:90], v[85:86], s[2:3], v[89:90]
	;; [unrolled: 1-line block ×5, first 2 shown]
	v_add_f64_e32 v[40:41], v[40:41], v[48:49]
	v_add_f64_e32 v[42:43], v[42:43], v[50:51]
	v_fma_f64 v[56:57], v[97:98], -0.5, v[76:77]
	v_fma_f64 v[76:77], v[99:100], -0.5, v[76:77]
	;; [unrolled: 1-line block ×4, first 2 shown]
	v_add_f64_e32 v[99:100], v[105:106], v[107:108]
	v_add_f64_e32 v[103:104], v[113:114], v[115:116]
	;; [unrolled: 1-line block ×3, first 2 shown]
	v_add_f64_e64 v[115:116], v[62:63], -v[66:67]
	v_add_f64_e64 v[62:63], v[66:67], -v[62:63]
	v_add_f64_e32 v[66:67], v[135:136], v[66:67]
	v_add_f64_e64 v[111:112], v[72:73], -v[68:69]
	v_add_f64_e64 v[113:114], v[68:69], -v[72:73]
	v_fma_f64 v[105:106], v[82:83], s[16:17], v[119:120]
	v_fma_f64 v[107:108], v[93:94], s[14:15], v[121:122]
	;; [unrolled: 1-line block ×6, first 2 shown]
	v_add_f64_e32 v[87:88], v[117:118], v[125:126]
	v_fma_f64 v[91:92], v[85:86], s[16:17], v[127:128]
	v_add_f64_e64 v[93:94], v[60:61], -v[64:65]
	v_add_f64_e64 v[60:61], v[64:65], -v[60:61]
	v_add_f64_e32 v[64:65], v[129:130], v[64:65]
	v_add_f64_e64 v[117:118], v[74:75], -v[70:71]
	v_add_f64_e64 v[119:120], v[70:71], -v[74:75]
	v_fma_f64 v[85:86], v[85:86], s[14:15], v[95:96]
	v_add_f64_e32 v[52:53], v[40:41], v[52:53]
	v_add_f64_e32 v[54:55], v[42:43], v[54:55]
	v_and_b32_e32 v40, 0xff, v84
	v_fma_f64 v[44:45], v[131:132], s[12:13], v[56:57]
	v_fma_f64 v[46:47], v[131:132], s[2:3], v[56:57]
	;; [unrolled: 1-line block ×8, first 2 shown]
	v_add_f64_e32 v[66:67], v[66:67], v[70:71]
	v_fma_f64 v[95:96], v[99:100], s[18:19], v[105:106]
	v_fma_f64 v[105:106], v[103:104], s[18:19], v[107:108]
	;; [unrolled: 1-line block ×7, first 2 shown]
	v_add_f64_e32 v[93:94], v[93:94], v[111:112]
	v_add_f64_e32 v[60:61], v[60:61], v[113:114]
	;; [unrolled: 1-line block ×5, first 2 shown]
	v_fma_f64 v[44:45], v[133:134], s[16:17], v[44:45]
	v_fma_f64 v[46:47], v[133:134], s[14:15], v[46:47]
	;; [unrolled: 1-line block ×9, first 2 shown]
	v_add_f64_e32 v[66:67], v[66:67], v[74:75]
	v_mul_f64_e32 v[78:79], s[20:21], v[95:96]
	v_mul_f64_e32 v[85:86], s[12:13], v[105:106]
	;; [unrolled: 1-line block ×8, first 2 shown]
	v_add_f64_e32 v[64:65], v[64:65], v[72:73]
	v_fma_f64 v[72:73], v[93:94], s[18:19], v[44:45]
	v_fma_f64 v[74:75], v[93:94], s[18:19], v[46:47]
	;; [unrolled: 1-line block ×8, first 2 shown]
	v_add_f64_e32 v[42:43], v[66:67], v[54:55]
	v_add_f64_e64 v[46:47], v[66:67], -v[54:55]
	v_fma_f64 v[68:69], v[76:77], s[16:17], v[78:79]
	v_fma_f64 v[70:71], v[80:81], s[18:19], v[85:86]
	v_fma_f64 v[85:86], v[76:77], s[20:21], v[95:96]
	v_fma_f64 v[78:79], v[89:90], s[12:13], -v[87:88]
	v_fma_f64 v[87:88], v[105:106], s[18:19], v[101:102]
	v_fma_f64 v[89:90], v[107:108], s[2:3], -v[103:104]
	v_fma_f64 v[80:81], v[91:92], s[16:17], -v[97:98]
	;; [unrolled: 1-line block ×3, first 2 shown]
	v_mul_lo_u16 v91, 0xcd, v40
	v_add_f64_e32 v[40:41], v[64:65], v[52:53]
	v_add_f64_e64 v[44:45], v[64:65], -v[52:53]
	s_delay_alu instid0(VALU_DEP_3)
	v_lshrrev_b16 v177, 11, v91
	v_add_f64_e32 v[48:49], v[72:73], v[68:69]
	v_add_f64_e32 v[52:53], v[93:94], v[70:71]
	;; [unrolled: 1-line block ×8, first 2 shown]
	v_add_f64_e64 v[64:65], v[72:73], -v[68:69]
	v_add_f64_e64 v[66:67], v[113:114], -v[85:86]
	;; [unrolled: 1-line block ×8, first 2 shown]
	v_mul_lo_u16 v80, v177, 10
	v_mul_lo_u16 v81, v84, 10
	s_delay_alu instid0(VALU_DEP_2) | instskip(NEXT) | instid1(VALU_DEP_2)
	v_sub_nc_u16 v80, v84, v80
	v_and_b32_e32 v81, 0xffff, v81
	s_delay_alu instid0(VALU_DEP_2) | instskip(NEXT) | instid1(VALU_DEP_2)
	v_and_b32_e32 v178, 0xff, v80
	v_lshl_add_u32 v203, v81, 4, v200
	ds_store_b128 v203, v[40:43]
	ds_store_b128 v203, v[48:51] offset:16
	ds_store_b128 v203, v[52:55] offset:32
	;; [unrolled: 1-line block ×9, first 2 shown]
	v_mad_co_u64_u32 v[80:81], null, 0x90, v178, s[10:11]
	global_wb scope:SCOPE_SE
	s_wait_dscnt 0x0
	s_barrier_signal -1
	s_barrier_wait -1
	global_inv scope:SCOPE_SE
	s_clause 0x8
	global_load_b128 v[72:75], v[80:81], off offset:32
	global_load_b128 v[48:51], v[80:81], off offset:64
	;; [unrolled: 1-line block ×4, first 2 shown]
	global_load_b128 v[40:43], v[80:81], off
	global_load_b128 v[64:67], v[80:81], off offset:16
	global_load_b128 v[60:63], v[80:81], off offset:48
	;; [unrolled: 1-line block ×4, first 2 shown]
	ds_load_b128 v[76:79], v199 offset:4320
	ds_load_b128 v[80:83], v199 offset:7200
	;; [unrolled: 1-line block ×6, first 2 shown]
	s_wait_loadcnt_dscnt 0x805
	v_mul_f64_e32 v[101:102], v[78:79], v[74:75]
	v_mul_f64_e32 v[103:104], v[76:77], v[74:75]
	s_wait_loadcnt_dscnt 0x704
	v_mul_f64_e32 v[105:106], v[82:83], v[50:51]
	v_mul_f64_e32 v[107:108], v[80:81], v[50:51]
	s_wait_loadcnt_dscnt 0x603
	v_mul_f64_e32 v[109:110], v[85:86], v[46:47]
	s_wait_loadcnt_dscnt 0x502
	v_mul_f64_e32 v[111:112], v[89:90], v[70:71]
	v_mul_f64_e32 v[113:114], v[91:92], v[70:71]
	v_mul_f64_e32 v[115:116], v[87:88], v[46:47]
	s_wait_loadcnt_dscnt 0x401
	v_mul_f64_e32 v[117:118], v[95:96], v[42:43]
	v_mul_f64_e32 v[119:120], v[93:94], v[42:43]
	v_fma_f64 v[101:102], v[76:77], v[72:73], -v[101:102]
	v_fma_f64 v[103:104], v[78:79], v[72:73], v[103:104]
	v_fma_f64 v[105:106], v[80:81], v[48:49], -v[105:106]
	v_fma_f64 v[107:108], v[82:83], v[48:49], v[107:108]
	v_fma_f64 v[109:110], v[87:88], v[44:45], v[109:110]
	;; [unrolled: 1-line block ×3, first 2 shown]
	v_fma_f64 v[89:90], v[89:90], v[68:69], -v[113:114]
	v_fma_f64 v[111:112], v[85:86], v[44:45], -v[115:116]
	ds_load_b128 v[76:79], v199 offset:5760
	ds_load_b128 v[80:83], v199 offset:8640
	;; [unrolled: 1-line block ×3, first 2 shown]
	s_wait_loadcnt_dscnt 0x303
	v_mul_f64_e32 v[113:114], v[99:100], v[66:67]
	v_mul_f64_e32 v[115:116], v[97:98], v[66:67]
	v_fma_f64 v[93:94], v[93:94], v[40:41], -v[117:118]
	v_fma_f64 v[95:96], v[95:96], v[40:41], v[119:120]
	s_wait_loadcnt_dscnt 0x202
	v_mul_f64_e32 v[121:122], v[78:79], v[62:63]
	v_mul_f64_e32 v[123:124], v[76:77], v[62:63]
	s_wait_loadcnt_dscnt 0x101
	v_mul_f64_e32 v[125:126], v[82:83], v[58:59]
	s_wait_loadcnt_dscnt 0x0
	v_mul_f64_e32 v[127:128], v[87:88], v[54:55]
	v_mul_f64_e32 v[129:130], v[80:81], v[58:59]
	;; [unrolled: 1-line block ×3, first 2 shown]
	v_add_f64_e64 v[141:142], v[101:102], -v[105:106]
	v_add_f64_e64 v[145:146], v[105:106], -v[101:102]
	v_add_f64_e32 v[117:118], v[107:108], v[109:110]
	v_add_f64_e32 v[119:120], v[103:104], v[91:92]
	;; [unrolled: 1-line block ×4, first 2 shown]
	v_add_f64_e64 v[143:144], v[89:90], -v[111:112]
	v_fma_f64 v[97:98], v[97:98], v[64:65], -v[113:114]
	v_fma_f64 v[99:100], v[99:100], v[64:65], v[115:116]
	v_add_f64_e64 v[147:148], v[111:112], -v[89:90]
	v_add_f64_e64 v[149:150], v[103:104], -v[107:108]
	v_add_f64_e64 v[151:152], v[91:92], -v[109:110]
	v_add_f64_e64 v[153:154], v[107:108], -v[103:104]
	v_add_f64_e64 v[155:156], v[109:110], -v[91:92]
	v_fma_f64 v[113:114], v[76:77], v[60:61], -v[121:122]
	v_fma_f64 v[115:116], v[78:79], v[60:61], v[123:124]
	v_fma_f64 v[80:81], v[80:81], v[56:57], -v[125:126]
	v_fma_f64 v[85:86], v[85:86], v[52:53], -v[127:128]
	v_fma_f64 v[82:83], v[82:83], v[56:57], v[129:130]
	v_fma_f64 v[87:88], v[87:88], v[52:53], v[131:132]
	v_add_f64_e64 v[121:122], v[103:104], -v[91:92]
	v_add_f64_e64 v[123:124], v[107:108], -v[109:110]
	;; [unrolled: 1-line block ×4, first 2 shown]
	ds_load_b128 v[76:79], v199
	global_wb scope:SCOPE_SE
	s_wait_dscnt 0x0
	s_barrier_signal -1
	s_barrier_wait -1
	global_inv scope:SCOPE_SE
	v_fma_f64 v[117:118], v[117:118], -0.5, v[95:96]
	v_fma_f64 v[119:120], v[119:120], -0.5, v[95:96]
	;; [unrolled: 1-line block ×4, first 2 shown]
	v_add_f64_e32 v[93:94], v[93:94], v[101:102]
	v_add_f64_e32 v[95:96], v[95:96], v[103:104]
	v_add_f64_e32 v[165:166], v[76:77], v[97:98]
	v_add_f64_e32 v[171:172], v[78:79], v[99:100]
	v_add_f64_e32 v[133:134], v[113:114], v[80:81]
	v_add_f64_e32 v[135:136], v[97:98], v[85:86]
	v_add_f64_e32 v[137:138], v[115:116], v[82:83]
	v_add_f64_e32 v[139:140], v[99:100], v[87:88]
	v_add_f64_e64 v[167:168], v[99:100], -v[87:88]
	v_add_f64_e64 v[173:174], v[97:98], -v[85:86]
	;; [unrolled: 1-line block ×4, first 2 shown]
	v_fma_f64 v[157:158], v[125:126], s[2:3], v[117:118]
	v_fma_f64 v[159:160], v[127:128], s[12:13], v[119:120]
	;; [unrolled: 1-line block ×8, first 2 shown]
	v_add_f64_e32 v[93:94], v[93:94], v[105:106]
	v_add_f64_e32 v[95:96], v[95:96], v[107:108]
	v_fma_f64 v[101:102], v[133:134], -0.5, v[76:77]
	v_fma_f64 v[76:77], v[135:136], -0.5, v[76:77]
	;; [unrolled: 1-line block ×4, first 2 shown]
	v_add_f64_e32 v[133:134], v[141:142], v[143:144]
	v_add_f64_e32 v[135:136], v[145:146], v[147:148]
	;; [unrolled: 1-line block ×4, first 2 shown]
	v_add_f64_e64 v[149:150], v[87:88], -v[82:83]
	v_add_f64_e64 v[151:152], v[82:83], -v[87:88]
	v_fma_f64 v[141:142], v[127:128], s[14:15], v[157:158]
	v_fma_f64 v[143:144], v[125:126], s[14:15], v[159:160]
	;; [unrolled: 1-line block ×8, first 2 shown]
	v_add_f64_e64 v[125:126], v[97:98], -v[113:114]
	v_add_f64_e64 v[97:98], v[113:114], -v[97:98]
	;; [unrolled: 1-line block ×4, first 2 shown]
	v_add_f64_e32 v[113:114], v[165:166], v[113:114]
	v_add_f64_e32 v[115:116], v[171:172], v[115:116]
	v_add_f64_e64 v[127:128], v[85:86], -v[80:81]
	v_add_f64_e64 v[129:130], v[80:81], -v[85:86]
	v_add_f64_e32 v[93:94], v[93:94], v[111:112]
	v_add_f64_e32 v[95:96], v[95:96], v[109:110]
	v_fma_f64 v[105:106], v[167:168], s[12:13], v[101:102]
	v_fma_f64 v[107:108], v[169:170], s[2:3], v[76:77]
	;; [unrolled: 1-line block ×16, first 2 shown]
	v_add_f64_e32 v[99:100], v[99:100], v[151:152]
	v_add_f64_e32 v[80:81], v[113:114], v[80:81]
	v_add_f64_e32 v[82:83], v[115:116], v[82:83]
	v_add_f64_e32 v[125:126], v[125:126], v[127:128]
	v_add_f64_e32 v[97:98], v[97:98], v[129:130]
	v_add_f64_e32 v[127:128], v[131:132], v[149:150]
	v_add_f64_e32 v[89:90], v[93:94], v[89:90]
	v_add_f64_e32 v[91:92], v[95:96], v[91:92]
	v_fma_f64 v[105:106], v[169:170], s[16:17], v[105:106]
	v_fma_f64 v[107:108], v[167:168], s[16:17], v[107:108]
	;; [unrolled: 1-line block ×8, first 2 shown]
                                        ; implicit-def: $vgpr152_vgpr153
	v_mul_f64_e32 v[113:114], s[16:17], v[141:142]
	v_mul_f64_e32 v[115:116], s[12:13], v[143:144]
	;; [unrolled: 1-line block ×8, first 2 shown]
	v_add_f64_e32 v[85:86], v[80:81], v[85:86]
	v_add_f64_e32 v[87:88], v[82:83], v[87:88]
	v_fma_f64 v[105:106], v[125:126], s[18:19], v[105:106]
	v_fma_f64 v[107:108], v[97:98], s[18:19], v[107:108]
	;; [unrolled: 1-line block ×10, first 2 shown]
	v_fma_f64 v[115:116], v[119:120], s[12:13], -v[129:130]
	v_fma_f64 v[117:118], v[117:118], s[16:17], -v[131:132]
	v_fma_f64 v[119:120], v[141:142], s[20:21], v[133:134]
	v_fma_f64 v[121:122], v[143:144], s[18:19], v[135:136]
	v_fma_f64 v[123:124], v[145:146], s[2:3], -v[137:138]
	v_fma_f64 v[129:130], v[147:148], s[14:15], -v[139:140]
	s_load_b64 s[2:3], s[0:1], 0x38
	s_mov_b32 s0, 0
	s_wait_alu 0xfffe
	v_mov_b32_e32 v190, s0
	v_add_f64_e32 v[80:81], v[85:86], v[89:90]
	v_add_f64_e32 v[82:83], v[87:88], v[91:92]
	v_add_f64_e64 v[85:86], v[85:86], -v[89:90]
	v_add_f64_e64 v[87:88], v[87:88], -v[91:92]
	v_add_f64_e32 v[89:90], v[105:106], v[109:110]
	v_add_f64_e32 v[93:94], v[107:108], v[113:114]
	;; [unrolled: 1-line block ×8, first 2 shown]
	v_add_f64_e64 v[105:106], v[105:106], -v[109:110]
	v_add_f64_e64 v[109:110], v[107:108], -v[113:114]
	;; [unrolled: 1-line block ×8, first 2 shown]
	v_and_b32_e32 v117, 0xffff, v177
                                        ; implicit-def: $vgpr148_vgpr149
	s_delay_alu instid0(VALU_DEP_1) | instskip(NEXT) | instid1(VALU_DEP_1)
	v_mul_u32_u24_e32 v117, 0x64, v117
	v_add_nc_u32_e32 v117, v117, v178
	s_delay_alu instid0(VALU_DEP_1)
	v_lshl_add_u32 v202, v117, 4, v200
	ds_store_b128 v202, v[80:83]
	ds_store_b128 v202, v[89:92] offset:160
	ds_store_b128 v202, v[93:96] offset:320
	;; [unrolled: 1-line block ×9, first 2 shown]
	global_wb scope:SCOPE_SE
	s_wait_dscnt 0x0
	s_wait_kmcnt 0x0
	s_barrier_signal -1
	s_barrier_wait -1
	global_inv scope:SCOPE_SE
	ds_load_b128 v[120:123], v199
	ds_load_b128 v[80:83], v199 offset:1440
	ds_load_b128 v[136:139], v199 offset:9600
	ds_load_b128 v[124:127], v199 offset:11040
	ds_load_b128 v[144:147], v199 offset:4800
	ds_load_b128 v[116:119], v199 offset:2880
	ds_load_b128 v[140:143], v199 offset:6240
	ds_load_b128 v[128:131], v199 offset:7680
	ds_load_b128 v[132:135], v199 offset:12480
	s_and_saveexec_b32 s0, vcc_lo
	s_cbranch_execz .LBB0_3
; %bb.2:
	ds_load_b128 v[76:79], v199 offset:4320
	ds_load_b128 v[148:151], v199 offset:9120
	;; [unrolled: 1-line block ×3, first 2 shown]
.LBB0_3:
	s_wait_alu 0xfffe
	s_or_b32 exec_lo, exec_lo, s0
	v_add_co_u32 v191, s0, 0xb4, v189
	s_wait_alu 0xf1ff
	v_add_co_ci_u32_e64 v192, null, 0, 0, s0
	v_add_co_u32 v206, s0, 0x10e, v189
	s_delay_alu instid0(VALU_DEP_3) | instskip(SKIP_2) | instid1(VALU_DEP_3)
	v_lshrrev_b16 v84, 2, v191
	s_wait_alu 0xf1ff
	v_add_co_ci_u32_e64 v207, null, 0, 0, s0
	v_lshrrev_b16 v85, 2, v206
	v_add_co_u32 v197, s0, 0x5a, v189
	v_and_b32_e32 v84, 0xffff, v84
	s_wait_alu 0xf1ff
	v_add_co_ci_u32_e64 v198, null, 0, 0, s0
	v_and_b32_e32 v85, 0xffff, v85
	v_add_co_u32 v86, s0, v189, -10
	v_mul_u32_u24_e32 v84, 0x147b, v84
	s_wait_alu 0xf1ff
	v_add_co_ci_u32_e64 v87, null, 0, -1, s0
	v_cmp_gt_u16_e64 s0, 10, v189
	s_mov_b32 s13, 0xbfebb67a
	v_lshrrev_b32_e32 v187, 17, v84
	v_mul_u32_u24_e32 v84, 0x147b, v85
	s_wait_alu 0xf1ff
	v_cndmask_b32_e64 v157, v87, v198, s0
	v_cndmask_b32_e64 v156, v86, v197, s0
	v_mul_lo_u16 v88, 0x64, v187
	v_lshrrev_b32_e32 v89, 17, v84
	v_lshlrev_b64_e32 v[84:85], 5, v[189:190]
	s_delay_alu instid0(VALU_DEP_4) | instskip(NEXT) | instid1(VALU_DEP_4)
	v_lshlrev_b64_e32 v[86:87], 5, v[156:157]
	v_sub_nc_u16 v190, v191, v88
	s_delay_alu instid0(VALU_DEP_4) | instskip(NEXT) | instid1(VALU_DEP_4)
	v_mul_lo_u16 v88, 0x64, v89
	v_add_co_u32 v193, s0, s10, v84
	s_delay_alu instid0(VALU_DEP_3) | instskip(NEXT) | instid1(VALU_DEP_3)
	v_lshlrev_b16 v84, 5, v190
	v_sub_nc_u16 v210, v206, v88
	s_wait_alu 0xf1ff
	v_add_co_ci_u32_e64 v194, s0, s11, v85, s0
	v_add_co_u32 v92, s0, s10, v86
	s_delay_alu instid0(VALU_DEP_3)
	v_lshlrev_b16 v100, 5, v210
	v_and_b32_e32 v101, 0xffff, v84
	s_wait_alu 0xf1ff
	v_add_co_ci_u32_e64 v93, s0, s11, v87, s0
	s_clause 0x1
	global_load_b128 v[88:91], v[193:194], off offset:1456
	global_load_b128 v[96:99], v[193:194], off offset:1440
	v_and_b32_e32 v102, 0xffff, v100
	v_add_co_u32 v100, s0, s10, v101
	s_wait_alu 0xf1ff
	v_add_co_ci_u32_e64 v101, null, s11, 0, s0
	s_delay_alu instid0(VALU_DEP_3)
	v_add_co_u32 v108, s0, s10, v102
	s_wait_alu 0xf1ff
	v_add_co_ci_u32_e64 v109, null, s11, 0, s0
	s_clause 0x5
	global_load_b128 v[84:87], v[92:93], off offset:1456
	global_load_b128 v[92:95], v[92:93], off offset:1440
	;; [unrolled: 1-line block ×6, first 2 shown]
	s_mov_b32 s0, 0xe8584caa
	s_mov_b32 s1, 0x3febb67a
	s_wait_alu 0xfffe
	s_mov_b32 s12, s0
	global_wb scope:SCOPE_SE
	s_wait_loadcnt_dscnt 0x0
	s_barrier_signal -1
	s_barrier_wait -1
	global_inv scope:SCOPE_SE
	v_mul_f64_e32 v[159:160], v[138:139], v[90:91]
	v_mul_f64_e32 v[157:158], v[146:147], v[98:99]
	;; [unrolled: 1-line block ×16, first 2 shown]
	v_fma_f64 v[136:137], v[136:137], v[88:89], -v[159:160]
	v_fma_f64 v[144:145], v[144:145], v[96:97], -v[157:158]
	v_fma_f64 v[146:147], v[146:147], v[96:97], v[161:162]
	v_fma_f64 v[138:139], v[138:139], v[88:89], v[163:164]
	v_fma_f64 v[128:129], v[128:129], v[104:105], -v[173:174]
	v_fma_f64 v[124:125], v[124:125], v[84:85], -v[167:168]
	v_fma_f64 v[140:141], v[140:141], v[92:93], -v[165:166]
	v_fma_f64 v[142:143], v[142:143], v[92:93], v[169:170]
	v_fma_f64 v[126:127], v[126:127], v[84:85], v[171:172]
	v_fma_f64 v[148:149], v[148:149], v[112:113], -v[181:182]
	v_fma_f64 v[152:153], v[152:153], v[108:109], -v[183:184]
	v_fma_f64 v[150:151], v[150:151], v[112:113], v[185:186]
	v_fma_f64 v[154:155], v[154:155], v[108:109], v[195:196]
	v_fma_f64 v[132:133], v[132:133], v[100:101], -v[175:176]
	v_fma_f64 v[130:131], v[130:131], v[104:105], v[177:178]
	v_fma_f64 v[134:135], v[134:135], v[100:101], v[179:180]
	v_add_f64_e32 v[157:158], v[144:145], v[136:137]
	v_add_f64_e32 v[173:174], v[120:121], v[144:145]
	;; [unrolled: 1-line block ×3, first 2 shown]
	v_add_f64_e64 v[175:176], v[146:147], -v[138:139]
	v_add_f64_e32 v[146:147], v[122:123], v[146:147]
	v_add_f64_e64 v[144:145], v[144:145], -v[136:137]
	v_add_f64_e32 v[161:162], v[140:141], v[124:125]
	v_add_f64_e32 v[177:178], v[80:81], v[140:141]
	;; [unrolled: 1-line block ×5, first 2 shown]
	v_add_f64_e64 v[142:143], v[142:143], -v[126:127]
	v_add_f64_e32 v[171:172], v[150:151], v[154:155]
	v_add_f64_e32 v[165:166], v[128:129], v[132:133]
	;; [unrolled: 1-line block ×5, first 2 shown]
	v_add_f64_e64 v[140:141], v[140:141], -v[124:125]
	v_add_f64_e64 v[204:205], v[150:151], -v[154:155]
	;; [unrolled: 1-line block ×5, first 2 shown]
	v_fma_f64 v[120:121], v[157:158], -0.5, v[120:121]
	v_add_f64_e32 v[157:158], v[116:117], v[128:129]
	v_fma_f64 v[122:123], v[159:160], -0.5, v[122:123]
	v_add_f64_e32 v[159:160], v[118:119], v[130:131]
	;; [unrolled: 2-line block ×5, first 2 shown]
	v_fma_f64 v[171:172], v[171:172], -0.5, v[78:79]
	v_fma_f64 v[165:166], v[165:166], -0.5, v[116:117]
	v_add_f64_e32 v[78:79], v[146:147], v[138:139]
	v_fma_f64 v[167:168], v[167:168], -0.5, v[118:119]
	v_add_f64_e32 v[148:149], v[181:182], v[152:153]
	v_add_f64_e32 v[150:151], v[183:184], v[154:155]
	v_mad_u16 v153, 0x12c, v187, v190
	v_and_b32_e32 v190, 0xffff, v210
	s_delay_alu instid0(VALU_DEP_2)
	v_and_b32_e32 v153, 0xffff, v153
	v_fma_f64 v[116:117], v[175:176], s[0:1], v[120:121]
	v_add_f64_e32 v[124:125], v[157:158], v[132:133]
	s_wait_alu 0xfffe
	v_fma_f64 v[118:119], v[144:145], s[12:13], v[122:123]
	v_add_f64_e32 v[126:127], v[159:160], v[134:135]
	v_fma_f64 v[120:121], v[175:176], s[12:13], v[120:121]
	v_fma_f64 v[122:123], v[144:145], s[0:1], v[122:123]
	;; [unrolled: 1-line block ×14, first 2 shown]
	v_cmp_lt_u16_e64 s0, 9, v189
	v_lshl_add_u32 v205, v153, 4, v200
	s_wait_alu 0xf1ff
	s_delay_alu instid0(VALU_DEP_2) | instskip(NEXT) | instid1(VALU_DEP_1)
	v_cndmask_b32_e64 v152, 0, 0x12c, s0
	v_add_nc_u32_e32 v152, v156, v152
	s_delay_alu instid0(VALU_DEP_1)
	v_lshl_add_u32 v204, v152, 4, v200
	ds_store_b128 v199, v[76:79]
	ds_store_b128 v199, v[116:119] offset:1600
	ds_store_b128 v199, v[120:123] offset:3200
	ds_store_b128 v204, v[80:83]
	ds_store_b128 v204, v[128:131] offset:1600
	ds_store_b128 v204, v[132:135] offset:3200
	;; [unrolled: 3-line block ×3, first 2 shown]
	s_and_saveexec_b32 s0, vcc_lo
	s_cbranch_execz .LBB0_5
; %bb.4:
	v_lshl_add_u32 v76, v190, 4, v200
	ds_store_b128 v76, v[148:151] offset:9600
	ds_store_b128 v76, v[140:143] offset:11200
	;; [unrolled: 1-line block ×3, first 2 shown]
.LBB0_5:
	s_wait_alu 0xfffe
	s_or_b32 exec_lo, exec_lo, s0
	global_wb scope:SCOPE_SE
	s_wait_dscnt 0x0
	s_barrier_signal -1
	s_barrier_wait -1
	global_inv scope:SCOPE_SE
	ds_load_b128 v[152:155], v199
	ds_load_b128 v[144:147], v199 offset:1440
	ds_load_b128 v[176:179], v199 offset:9600
	ds_load_b128 v[164:167], v199 offset:11040
	ds_load_b128 v[184:187], v199 offset:4800
	ds_load_b128 v[156:159], v199 offset:2880
	ds_load_b128 v[180:183], v199 offset:6240
	ds_load_b128 v[168:171], v199 offset:7680
	ds_load_b128 v[172:175], v199 offset:12480
	v_add_co_u32 v195, s0, s8, v201
	s_wait_alu 0xf1ff
	v_add_co_ci_u32_e64 v196, null, s9, 0, s0
	s_and_saveexec_b32 s0, vcc_lo
	s_cbranch_execz .LBB0_7
; %bb.6:
	ds_load_b128 v[148:151], v199 offset:4320
	ds_load_b128 v[140:143], v199 offset:9120
	;; [unrolled: 1-line block ×3, first 2 shown]
.LBB0_7:
	s_wait_alu 0xfffe
	s_or_b32 exec_lo, exec_lo, s0
	v_add_co_u32 v80, s0, 0xffffffe2, v189
	v_lshlrev_b64_e32 v[76:77], 5, v[197:198]
	s_wait_alu 0xf1ff
	v_add_co_ci_u32_e64 v81, null, 0, -1, s0
	v_lshlrev_b64_e32 v[78:79], 5, v[191:192]
	v_cndmask_b32_e32 v80, v80, v206, vcc_lo
	s_delay_alu instid0(VALU_DEP_4) | instskip(NEXT) | instid1(VALU_DEP_4)
	v_add_co_u32 v76, s0, s10, v76
	v_cndmask_b32_e32 v81, v81, v207, vcc_lo
	s_wait_alu 0xf1ff
	v_add_co_ci_u32_e64 v77, s0, s11, v77, s0
	s_clause 0x3
	global_load_b128 v[120:123], v[193:194], off offset:4656
	global_load_b128 v[128:131], v[193:194], off offset:4640
	;; [unrolled: 1-line block ×4, first 2 shown]
	v_lshlrev_b64_e32 v[76:77], 5, v[80:81]
	v_add_co_u32 v78, s0, s10, v78
	s_wait_alu 0xf1ff
	v_add_co_ci_u32_e64 v79, s0, s11, v79, s0
	s_delay_alu instid0(VALU_DEP_3)
	v_add_co_u32 v76, s0, s10, v76
	s_wait_alu 0xf1ff
	v_add_co_ci_u32_e64 v77, s0, s11, v77, s0
	s_clause 0x3
	global_load_b128 v[136:139], v[78:79], off offset:4640
	global_load_b128 v[132:135], v[78:79], off offset:4656
	;; [unrolled: 1-line block ×4, first 2 shown]
	s_mov_b32 s0, 0xe8584caa
	s_mov_b32 s1, 0x3febb67a
	;; [unrolled: 1-line block ×3, first 2 shown]
	s_wait_alu 0xfffe
	s_mov_b32 s10, s0
	s_wait_loadcnt_dscnt 0x706
	v_mul_f64_e32 v[193:194], v[178:179], v[122:123]
	s_wait_loadcnt_dscnt 0x604
	v_mul_f64_e32 v[191:192], v[186:187], v[130:131]
	v_mul_f64_e32 v[197:198], v[184:185], v[130:131]
	;; [unrolled: 1-line block ×3, first 2 shown]
	s_wait_loadcnt_dscnt 0x402
	v_mul_f64_e32 v[208:209], v[182:183], v[126:127]
	v_mul_f64_e32 v[210:211], v[166:167], v[118:119]
	;; [unrolled: 1-line block ×4, first 2 shown]
	s_wait_loadcnt_dscnt 0x301
	v_mul_f64_e32 v[216:217], v[170:171], v[138:139]
	s_wait_loadcnt_dscnt 0x200
	v_mul_f64_e32 v[218:219], v[174:175], v[134:135]
	s_wait_loadcnt 0x1
	v_mul_f64_e32 v[224:225], v[142:143], v[82:83]
	s_wait_loadcnt 0x0
	v_mul_f64_e32 v[226:227], v[162:163], v[78:79]
	v_mul_f64_e32 v[228:229], v[140:141], v[82:83]
	;; [unrolled: 1-line block ×5, first 2 shown]
	v_fma_f64 v[176:177], v[176:177], v[120:121], -v[193:194]
	v_fma_f64 v[184:185], v[184:185], v[128:129], -v[191:192]
	v_fma_f64 v[186:187], v[186:187], v[128:129], v[197:198]
	v_fma_f64 v[178:179], v[178:179], v[120:121], v[206:207]
	v_fma_f64 v[180:181], v[180:181], v[124:125], -v[208:209]
	v_fma_f64 v[191:192], v[164:165], v[116:117], -v[210:211]
	v_fma_f64 v[182:183], v[182:183], v[124:125], v[212:213]
	v_fma_f64 v[193:194], v[166:167], v[116:117], v[214:215]
	v_fma_f64 v[168:169], v[168:169], v[136:137], -v[216:217]
	v_fma_f64 v[172:173], v[172:173], v[132:133], -v[218:219]
	;; [unrolled: 1-line block ×4, first 2 shown]
	v_fma_f64 v[166:167], v[142:143], v[80:81], v[228:229]
	v_fma_f64 v[162:163], v[162:163], v[76:77], v[230:231]
	;; [unrolled: 1-line block ×4, first 2 shown]
	v_add_f64_e32 v[140:141], v[184:185], v[176:177]
	v_add_f64_e32 v[216:217], v[152:153], v[184:185]
	v_add_f64_e32 v[142:143], v[186:187], v[178:179]
	v_add_f64_e64 v[218:219], v[186:187], -v[178:179]
	v_add_f64_e32 v[197:198], v[180:181], v[191:192]
	v_add_f64_e32 v[186:187], v[154:155], v[186:187]
	;; [unrolled: 1-line block ×5, first 2 shown]
	v_add_f64_e64 v[184:185], v[184:185], -v[176:177]
	v_add_f64_e64 v[228:229], v[182:183], -v[193:194]
	v_add_f64_e32 v[224:225], v[156:157], v[168:169]
	v_add_f64_e32 v[208:209], v[168:169], v[172:173]
	v_add_f64_e64 v[232:233], v[168:169], -v[172:173]
	v_add_f64_e32 v[212:213], v[164:165], v[160:161]
	v_add_f64_e64 v[238:239], v[164:165], -v[160:161]
	;; [unrolled: 2-line block ×3, first 2 shown]
	v_add_f64_e32 v[210:211], v[170:171], v[174:175]
	v_add_f64_e32 v[226:227], v[158:159], v[170:171]
	v_add_f64_e64 v[230:231], v[170:171], -v[174:175]
	v_fma_f64 v[140:141], v[140:141], -0.5, v[152:153]
	v_lshl_add_u32 v152, v189, 4, v200
	v_fma_f64 v[142:143], v[142:143], -0.5, v[154:155]
	v_add_f64_e32 v[153:154], v[216:217], v[176:177]
	v_fma_f64 v[144:145], v[197:198], -0.5, v[144:145]
	v_add_f64_e64 v[197:198], v[180:181], -v[191:192]
	v_fma_f64 v[146:147], v[206:207], -0.5, v[146:147]
	v_add_f64_e32 v[168:169], v[220:221], v[191:192]
	v_add_f64_e32 v[170:171], v[222:223], v[193:194]
	;; [unrolled: 1-line block ×3, first 2 shown]
	v_fma_f64 v[208:209], v[208:209], -0.5, v[156:157]
	v_add_f64_e32 v[155:156], v[186:187], v[178:179]
	v_fma_f64 v[236:237], v[212:213], -0.5, v[148:149]
	v_fma_f64 v[214:215], v[214:215], -0.5, v[150:151]
	;; [unrolled: 1-line block ×3, first 2 shown]
	v_add_f64_e32 v[174:175], v[226:227], v[174:175]
	v_fma_f64 v[176:177], v[218:219], s[0:1], v[140:141]
	s_wait_alu 0xfffe
	v_fma_f64 v[180:181], v[218:219], s[10:11], v[140:141]
	v_fma_f64 v[178:179], v[184:185], s[10:11], v[142:143]
	;; [unrolled: 1-line block ×15, first 2 shown]
	ds_store_b128 v152, v[176:179] offset:4800
	ds_store_b128 v152, v[180:183] offset:9600
	ds_store_b128 v199, v[153:156]
	ds_store_b128 v199, v[168:171] offset:1440
	ds_store_b128 v152, v[184:187] offset:6240
	;; [unrolled: 1-line block ×6, first 2 shown]
	s_and_saveexec_b32 s0, vcc_lo
	s_cbranch_execz .LBB0_9
; %bb.8:
	v_add_f64_e32 v[150:151], v[150:151], v[166:167]
	v_add_f64_e32 v[148:149], v[148:149], v[164:165]
	s_delay_alu instid0(VALU_DEP_2) | instskip(NEXT) | instid1(VALU_DEP_2)
	v_add_f64_e32 v[150:151], v[150:151], v[162:163]
	v_add_f64_e32 v[148:149], v[148:149], v[160:161]
	ds_store_b128 v199, v[148:151] offset:4320
	ds_store_b128 v152, v[140:143] offset:9120
	;; [unrolled: 1-line block ×3, first 2 shown]
.LBB0_9:
	s_wait_alu 0xfffe
	s_or_b32 exec_lo, exec_lo, s0
	global_wb scope:SCOPE_SE
	s_wait_dscnt 0x0
	s_barrier_signal -1
	s_barrier_wait -1
	global_inv scope:SCOPE_SE
	global_load_b128 v[148:151], v[195:196], off offset:14400
	s_add_nc_u64 s[0:1], s[8:9], 0x3840
	s_mov_b32 s12, 0x134454ff
	global_load_b128 v[153:156], v201, s[0:1] offset:1440
	ds_load_b128 v[157:160], v199
	ds_load_b128 v[161:164], v199 offset:1440
	s_mov_b32 s13, 0xbfee6f0e
	s_mov_b32 s15, 0x3fee6f0e
	s_wait_alu 0xfffe
	s_mov_b32 s14, s12
	s_mov_b32 s8, 0x4755a5e
	;; [unrolled: 1-line block ×6, first 2 shown]
	s_wait_alu 0xfffe
	s_mov_b32 s16, s10
	s_mov_b32 s19, 0xbfe9e377
	;; [unrolled: 1-line block ×3, first 2 shown]
	s_wait_loadcnt_dscnt 0x101
	v_mul_f64_e32 v[165:166], v[159:160], v[150:151]
	v_mul_f64_e32 v[150:151], v[157:158], v[150:151]
	s_delay_alu instid0(VALU_DEP_2) | instskip(NEXT) | instid1(VALU_DEP_2)
	v_fma_f64 v[157:158], v[157:158], v[148:149], -v[165:166]
	v_fma_f64 v[159:160], v[159:160], v[148:149], v[150:151]
	s_wait_loadcnt_dscnt 0x0
	v_mul_f64_e32 v[148:149], v[163:164], v[155:156]
	v_mul_f64_e32 v[150:151], v[161:162], v[155:156]
	s_delay_alu instid0(VALU_DEP_2) | instskip(NEXT) | instid1(VALU_DEP_2)
	v_fma_f64 v[148:149], v[161:162], v[153:154], -v[148:149]
	v_fma_f64 v[150:151], v[163:164], v[153:154], v[150:151]
	s_clause 0x1
	global_load_b128 v[153:156], v201, s[0:1] offset:2880
	global_load_b128 v[161:164], v201, s[0:1] offset:4320
	ds_load_b128 v[165:168], v199 offset:2880
	ds_load_b128 v[169:172], v199 offset:4320
	s_wait_loadcnt_dscnt 0x101
	v_mul_f64_e32 v[173:174], v[167:168], v[155:156]
	v_mul_f64_e32 v[155:156], v[165:166], v[155:156]
	s_delay_alu instid0(VALU_DEP_2) | instskip(NEXT) | instid1(VALU_DEP_2)
	v_fma_f64 v[165:166], v[165:166], v[153:154], -v[173:174]
	v_fma_f64 v[167:168], v[167:168], v[153:154], v[155:156]
	s_wait_loadcnt_dscnt 0x0
	v_mul_f64_e32 v[153:154], v[171:172], v[163:164]
	v_mul_f64_e32 v[155:156], v[169:170], v[163:164]
	s_delay_alu instid0(VALU_DEP_2) | instskip(NEXT) | instid1(VALU_DEP_2)
	v_fma_f64 v[153:154], v[169:170], v[161:162], -v[153:154]
	v_fma_f64 v[155:156], v[171:172], v[161:162], v[155:156]
	s_clause 0x1
	global_load_b128 v[161:164], v201, s[0:1] offset:5760
	global_load_b128 v[169:172], v201, s[0:1] offset:7200
	ds_load_b128 v[173:176], v199 offset:5760
	ds_load_b128 v[177:180], v199 offset:7200
	;; [unrolled: 17-line block ×4, first 2 shown]
	s_mov_b32 s1, 0x3fe2cf23
	s_mov_b32 s0, s8
	s_wait_loadcnt_dscnt 0x101
	v_mul_f64_e32 v[185:186], v[197:198], v[179:180]
	v_mul_f64_e32 v[179:180], v[195:196], v[179:180]
	s_delay_alu instid0(VALU_DEP_2) | instskip(NEXT) | instid1(VALU_DEP_2)
	v_fma_f64 v[195:196], v[195:196], v[177:178], -v[185:186]
	v_fma_f64 v[197:198], v[197:198], v[177:178], v[179:180]
	s_wait_loadcnt_dscnt 0x0
	v_mul_f64_e32 v[177:178], v[208:209], v[193:194]
	v_mul_f64_e32 v[179:180], v[206:207], v[193:194]
	s_delay_alu instid0(VALU_DEP_2) | instskip(NEXT) | instid1(VALU_DEP_2)
	v_fma_f64 v[177:178], v[206:207], v[191:192], -v[177:178]
	v_fma_f64 v[179:180], v[208:209], v[191:192], v[179:180]
	ds_store_b128 v199, v[157:160]
	ds_store_b128 v199, v[148:151] offset:1440
	ds_store_b128 v199, v[165:168] offset:2880
	;; [unrolled: 1-line block ×9, first 2 shown]
	global_wb scope:SCOPE_SE
	s_wait_dscnt 0x0
	s_barrier_signal -1
	s_barrier_wait -1
	global_inv scope:SCOPE_SE
	ds_load_b128 v[148:151], v199
	ds_load_b128 v[153:156], v199 offset:2880
	ds_load_b128 v[157:160], v199 offset:4320
	;; [unrolled: 1-line block ×7, first 2 shown]
	s_wait_dscnt 0x6
	v_add_f64_e32 v[181:182], v[148:149], v[153:154]
	v_add_f64_e32 v[183:184], v[150:151], v[155:156]
	s_wait_dscnt 0x3
	v_add_f64_e32 v[185:186], v[153:154], v[165:166]
	v_add_f64_e32 v[191:192], v[155:156], v[167:168]
	v_add_f64_e64 v[193:194], v[155:156], -v[167:168]
	v_add_f64_e64 v[195:196], v[153:154], -v[165:166]
	s_wait_dscnt 0x1
	v_add_f64_e64 v[197:198], v[153:154], -v[173:174]
	v_add_f64_e64 v[206:207], v[173:174], -v[153:154]
	;; [unrolled: 1-line block ×5, first 2 shown]
	s_wait_dscnt 0x0
	v_add_f64_e64 v[232:233], v[157:158], -v[177:178]
	v_add_f64_e64 v[238:239], v[177:178], -v[157:158]
	;; [unrolled: 1-line block ×5, first 2 shown]
	v_add_f64_e32 v[212:213], v[181:182], v[173:174]
	v_add_f64_e32 v[214:215], v[183:184], v[175:176]
	ds_load_b128 v[153:156], v199 offset:8640
	ds_load_b128 v[181:184], v199 offset:10080
	v_fma_f64 v[185:186], v[185:186], -0.5, v[148:149]
	v_fma_f64 v[191:192], v[191:192], -0.5, v[150:151]
	global_wb scope:SCOPE_SE
	s_wait_dscnt 0x0
	s_barrier_signal -1
	s_barrier_wait -1
	global_inv scope:SCOPE_SE
	v_add_f64_e32 v[216:217], v[173:174], v[153:154]
	v_add_f64_e64 v[222:223], v[173:174], -v[153:154]
	v_add_f64_e32 v[218:219], v[175:176], v[155:156]
	v_add_f64_e64 v[220:221], v[175:176], -v[155:156]
	v_add_f64_e64 v[224:225], v[167:168], -v[155:156]
	;; [unrolled: 1-line block ×5, first 2 shown]
	v_add_f64_e32 v[173:174], v[212:213], v[153:154]
	v_add_f64_e32 v[175:176], v[214:215], v[155:156]
	v_add_f64_e64 v[212:213], v[165:166], -v[153:154]
	v_add_f64_e64 v[214:215], v[153:154], -v[165:166]
	v_fma_f64 v[216:217], v[216:217], -0.5, v[148:149]
	v_fma_f64 v[218:219], v[218:219], -0.5, v[150:151]
	v_add_f64_e32 v[208:209], v[208:209], v[224:225]
	v_add_f64_e32 v[153:154], v[173:174], v[165:166]
	;; [unrolled: 1-line block ×12, first 2 shown]
	v_add_f64_e64 v[179:180], v[171:172], -v[183:184]
	v_add_f64_e64 v[177:178], v[169:170], -v[181:182]
	v_fma_f64 v[175:176], v[175:176], -0.5, v[161:162]
	v_fma_f64 v[173:174], v[173:174], -0.5, v[163:164]
	v_add_f64_e32 v[157:158], v[157:158], v[181:182]
	v_fma_f64 v[244:245], v[165:166], -0.5, v[163:164]
	v_add_f64_e32 v[159:160], v[159:160], v[183:184]
	;; [unrolled: 2-line block ×3, first 2 shown]
	v_add_f64_e32 v[232:233], v[232:233], v[177:178]
	v_add_f64_e64 v[183:184], v[183:184], -v[171:172]
	v_add_f64_e64 v[181:182], v[181:182], -v[169:170]
	v_add_f64_e32 v[157:158], v[157:158], v[169:170]
	v_add_f64_e32 v[159:160], v[159:160], v[171:172]
	s_delay_alu instid0(VALU_DEP_4) | instskip(NEXT) | instid1(VALU_DEP_4)
	v_add_f64_e32 v[177:178], v[236:237], v[183:184]
	v_add_f64_e32 v[179:180], v[238:239], v[181:182]
	;; [unrolled: 1-line block ×5, first 2 shown]
	v_add_f64_e64 v[153:154], v[153:154], -v[157:158]
	v_fma_f64 v[157:158], v[228:229], s[14:15], v[244:245]
	v_add_f64_e32 v[150:151], v[155:156], v[159:160]
	v_add_f64_e64 v[155:156], v[155:156], -v[159:160]
	v_fma_f64 v[159:160], v[230:231], s[12:13], v[246:247]
	s_wait_alu 0xfffe
	s_delay_alu instid0(VALU_DEP_4) | instskip(NEXT) | instid1(VALU_DEP_2)
	v_fma_f64 v[157:158], v[240:241], s[0:1], v[157:158]
	v_fma_f64 v[159:160], v[242:243], s[8:9], v[159:160]
	s_delay_alu instid0(VALU_DEP_2) | instskip(NEXT) | instid1(VALU_DEP_2)
	v_fma_f64 v[157:158], v[234:235], s[10:11], v[157:158]
	v_fma_f64 v[159:160], v[232:233], s[10:11], v[159:160]
	s_delay_alu instid0(VALU_DEP_2) | instskip(NEXT) | instid1(VALU_DEP_1)
	v_mul_f64_e32 v[161:162], s[8:9], v[157:158]
	v_fma_f64 v[161:162], v[159:160], s[20:21], v[161:162]
	v_mul_f64_e32 v[159:160], s[0:1], v[159:160]
	s_delay_alu instid0(VALU_DEP_1) | instskip(SKIP_2) | instid1(VALU_DEP_2)
	v_fma_f64 v[163:164], v[157:158], s[20:21], v[159:160]
	v_fma_f64 v[157:158], v[193:194], s[12:13], v[216:217]
	;; [unrolled: 1-line block ×4, first 2 shown]
	s_delay_alu instid0(VALU_DEP_2) | instskip(NEXT) | instid1(VALU_DEP_2)
	v_fma_f64 v[159:160], v[222:223], s[0:1], v[159:160]
	v_fma_f64 v[165:166], v[197:198], s[10:11], v[157:158]
	s_delay_alu instid0(VALU_DEP_2) | instskip(NEXT) | instid1(VALU_DEP_2)
	v_fma_f64 v[167:168], v[208:209], s[10:11], v[159:160]
	v_add_f64_e32 v[157:158], v[165:166], v[161:162]
	v_add_f64_e64 v[161:162], v[165:166], -v[161:162]
	v_fma_f64 v[165:166], v[240:241], s[12:13], v[173:174]
	s_delay_alu instid0(VALU_DEP_4)
	v_add_f64_e32 v[159:160], v[167:168], v[163:164]
	v_add_f64_e64 v[163:164], v[167:168], -v[163:164]
	v_fma_f64 v[167:168], v[242:243], s[14:15], v[175:176]
	v_fma_f64 v[173:174], v[240:241], s[14:15], v[173:174]
	;; [unrolled: 1-line block ×4, first 2 shown]
	s_delay_alu instid0(VALU_DEP_4) | instskip(NEXT) | instid1(VALU_DEP_4)
	v_fma_f64 v[167:168], v[230:231], s[8:9], v[167:168]
	v_fma_f64 v[173:174], v[228:229], s[8:9], v[173:174]
	s_delay_alu instid0(VALU_DEP_4) | instskip(NEXT) | instid1(VALU_DEP_4)
	v_fma_f64 v[175:176], v[230:231], s[0:1], v[175:176]
	v_fma_f64 v[165:166], v[177:178], s[10:11], v[165:166]
	;; [unrolled: 3-line block ×3, first 2 shown]
	v_fma_f64 v[177:178], v[220:221], s[12:13], v[185:186]
	v_fma_f64 v[175:176], v[179:180], s[10:11], v[175:176]
	;; [unrolled: 1-line block ×3, first 2 shown]
	v_mul_f64_e32 v[169:170], s[12:13], v[165:166]
	v_mul_f64_e32 v[165:166], s[10:11], v[165:166]
	v_fma_f64 v[177:178], v[193:194], s[0:1], v[177:178]
	s_delay_alu instid0(VALU_DEP_4) | instskip(NEXT) | instid1(VALU_DEP_4)
	v_fma_f64 v[179:180], v[195:196], s[8:9], v[179:180]
	v_fma_f64 v[169:170], v[167:168], s[10:11], v[169:170]
	s_delay_alu instid0(VALU_DEP_4)
	v_fma_f64 v[171:172], v[167:168], s[14:15], v[165:166]
	v_fma_f64 v[165:166], v[220:221], s[14:15], v[185:186]
	v_fma_f64 v[167:168], v[222:223], s[12:13], v[191:192]
	v_fma_f64 v[191:192], v[195:196], s[12:13], v[218:219]
	v_fma_f64 v[177:178], v[181:182], s[10:11], v[177:178]
	v_fma_f64 v[185:186], v[193:194], s[14:15], v[216:217]
	v_fma_f64 v[179:180], v[183:184], s[10:11], v[179:180]
	v_fma_f64 v[165:166], v[193:194], s[8:9], v[165:166]
	v_fma_f64 v[167:168], v[195:196], s[0:1], v[167:168]
	v_fma_f64 v[191:192], v[222:223], s[8:9], v[191:192]
	v_fma_f64 v[185:186], v[220:221], s[0:1], v[185:186]
	s_delay_alu instid0(VALU_DEP_4)
	v_fma_f64 v[206:207], v[181:182], s[10:11], v[165:166]
	v_mul_f64_e32 v[181:182], s[12:13], v[173:174]
	v_mul_f64_e32 v[173:174], s[16:17], v[173:174]
	v_fma_f64 v[210:211], v[183:184], s[10:11], v[167:168]
	v_fma_f64 v[193:194], v[208:209], s[10:11], v[191:192]
	;; [unrolled: 1-line block ×3, first 2 shown]
	v_add_f64_e32 v[165:166], v[206:207], v[169:170]
	v_fma_f64 v[181:182], v[175:176], s[16:17], v[181:182]
	v_fma_f64 v[183:184], v[175:176], s[14:15], v[173:174]
	v_add_f64_e32 v[167:168], v[210:211], v[171:172]
	v_add_f64_e64 v[169:170], v[206:207], -v[169:170]
	v_add_f64_e64 v[171:172], v[210:211], -v[171:172]
	v_add_f64_e32 v[173:174], v[177:178], v[181:182]
	v_add_f64_e64 v[177:178], v[177:178], -v[181:182]
	v_fma_f64 v[181:182], v[228:229], s[12:13], v[244:245]
	v_add_f64_e32 v[175:176], v[179:180], v[183:184]
	v_add_f64_e64 v[179:180], v[179:180], -v[183:184]
	v_fma_f64 v[183:184], v[230:231], s[14:15], v[246:247]
	s_delay_alu instid0(VALU_DEP_4) | instskip(NEXT) | instid1(VALU_DEP_2)
	v_fma_f64 v[181:182], v[240:241], s[8:9], v[181:182]
	v_fma_f64 v[183:184], v[242:243], s[0:1], v[183:184]
	s_delay_alu instid0(VALU_DEP_2) | instskip(NEXT) | instid1(VALU_DEP_2)
	v_fma_f64 v[181:182], v[234:235], s[10:11], v[181:182]
	v_fma_f64 v[183:184], v[232:233], s[10:11], v[183:184]
	s_delay_alu instid0(VALU_DEP_2) | instskip(SKIP_1) | instid1(VALU_DEP_2)
	v_mul_f64_e32 v[191:192], s[8:9], v[181:182]
	v_mul_f64_e32 v[181:182], s[18:19], v[181:182]
	v_fma_f64 v[191:192], v[183:184], s[18:19], v[191:192]
	s_delay_alu instid0(VALU_DEP_2) | instskip(NEXT) | instid1(VALU_DEP_2)
	v_fma_f64 v[195:196], v[183:184], s[0:1], v[181:182]
	v_add_f64_e32 v[181:182], v[185:186], v[191:192]
	s_delay_alu instid0(VALU_DEP_2)
	v_add_f64_e32 v[183:184], v[193:194], v[195:196]
	v_add_f64_e64 v[191:192], v[185:186], -v[191:192]
	v_add_f64_e64 v[193:194], v[193:194], -v[195:196]
	ds_store_b128 v203, v[148:151]
	ds_store_b128 v203, v[157:160] offset:16
	ds_store_b128 v203, v[165:168] offset:32
	ds_store_b128 v203, v[173:176] offset:48
	ds_store_b128 v203, v[153:156] offset:80
	ds_store_b128 v203, v[181:184] offset:64
	ds_store_b128 v203, v[161:164] offset:96
	ds_store_b128 v203, v[169:172] offset:112
	ds_store_b128 v203, v[177:180] offset:128
	ds_store_b128 v203, v[191:194] offset:144
	global_wb scope:SCOPE_SE
	s_wait_dscnt 0x0
	s_barrier_signal -1
	s_barrier_wait -1
	global_inv scope:SCOPE_SE
	ds_load_b128 v[148:151], v199 offset:4320
	ds_load_b128 v[153:156], v199 offset:2880
	s_wait_dscnt 0x1
	v_mul_f64_e32 v[157:158], v[74:75], v[148:149]
	v_mul_f64_e32 v[74:75], v[74:75], v[150:151]
	s_delay_alu instid0(VALU_DEP_2) | instskip(NEXT) | instid1(VALU_DEP_2)
	v_fma_f64 v[157:158], v[72:73], v[150:151], -v[157:158]
	v_fma_f64 v[159:160], v[72:73], v[148:149], v[74:75]
	ds_load_b128 v[72:75], v199 offset:7200
	ds_load_b128 v[148:151], v199 offset:5760
	s_wait_dscnt 0x1
	v_mul_f64_e32 v[161:162], v[50:51], v[72:73]
	v_mul_f64_e32 v[50:51], v[50:51], v[74:75]
	s_delay_alu instid0(VALU_DEP_2) | instskip(NEXT) | instid1(VALU_DEP_2)
	v_fma_f64 v[161:162], v[48:49], v[74:75], -v[161:162]
	v_fma_f64 v[163:164], v[48:49], v[72:73], v[50:51]
	;; [unrolled: 8-line block ×3, first 2 shown]
	ds_load_b128 v[44:47], v199 offset:12960
	ds_load_b128 v[48:51], v199 offset:11520
	s_wait_dscnt 0x1
	v_mul_f64_e32 v[169:170], v[70:71], v[44:45]
	v_add_f64_e64 v[195:196], v[161:162], -v[165:166]
	v_add_f64_e64 v[191:192], v[163:164], -v[167:168]
	s_delay_alu instid0(VALU_DEP_3) | instskip(SKIP_1) | instid1(VALU_DEP_2)
	v_fma_f64 v[169:170], v[68:69], v[46:47], -v[169:170]
	v_mul_f64_e32 v[46:47], v[70:71], v[46:47]
	v_add_f64_e64 v[193:194], v[157:158], -v[169:170]
	s_delay_alu instid0(VALU_DEP_2) | instskip(SKIP_1) | instid1(VALU_DEP_2)
	v_fma_f64 v[68:69], v[68:69], v[44:45], v[46:47]
	v_mul_f64_e32 v[44:45], v[66:67], v[155:156]
	v_add_f64_e64 v[185:186], v[159:160], -v[68:69]
	s_delay_alu instid0(VALU_DEP_2) | instskip(SKIP_1) | instid1(VALU_DEP_1)
	v_fma_f64 v[70:71], v[64:65], v[153:154], v[44:45]
	v_mul_f64_e32 v[44:45], v[66:67], v[153:154]
	v_fma_f64 v[64:65], v[64:65], v[155:156], -v[44:45]
	v_mul_f64_e32 v[44:45], v[62:63], v[150:151]
	s_delay_alu instid0(VALU_DEP_1) | instskip(SKIP_1) | instid1(VALU_DEP_1)
	v_fma_f64 v[66:67], v[60:61], v[148:149], v[44:45]
	v_mul_f64_e32 v[44:45], v[62:63], v[148:149]
	v_fma_f64 v[60:61], v[60:61], v[150:151], -v[44:45]
	v_mul_f64_e32 v[44:45], v[58:59], v[74:75]
	s_delay_alu instid0(VALU_DEP_1) | instskip(SKIP_1) | instid1(VALU_DEP_2)
	v_fma_f64 v[62:63], v[56:57], v[72:73], v[44:45]
	v_mul_f64_e32 v[44:45], v[58:59], v[72:73]
	v_add_f64_e64 v[210:211], v[66:67], -v[62:63]
	s_delay_alu instid0(VALU_DEP_2) | instskip(SKIP_2) | instid1(VALU_DEP_2)
	v_fma_f64 v[72:73], v[56:57], v[74:75], -v[44:45]
	s_wait_dscnt 0x0
	v_mul_f64_e32 v[44:45], v[54:55], v[50:51]
	v_add_f64_e64 v[206:207], v[60:61], -v[72:73]
	s_delay_alu instid0(VALU_DEP_2) | instskip(SKIP_1) | instid1(VALU_DEP_2)
	v_fma_f64 v[74:75], v[52:53], v[48:49], v[44:45]
	v_mul_f64_e32 v[44:45], v[54:55], v[48:49]
	v_add_f64_e64 v[208:209], v[70:71], -v[74:75]
	s_delay_alu instid0(VALU_DEP_2)
	v_fma_f64 v[148:149], v[52:53], v[50:51], -v[44:45]
	ds_load_b128 v[44:47], v199 offset:1440
	ds_load_b128 v[48:51], v199
	global_wb scope:SCOPE_SE
	s_wait_dscnt 0x0
	s_barrier_signal -1
	s_barrier_wait -1
	global_inv scope:SCOPE_SE
	v_mul_f64_e32 v[52:53], v[42:43], v[44:45]
	v_mul_f64_e32 v[42:43], v[42:43], v[46:47]
	v_add_f64_e64 v[197:198], v[64:65], -v[148:149]
	s_delay_alu instid0(VALU_DEP_3) | instskip(NEXT) | instid1(VALU_DEP_3)
	v_fma_f64 v[150:151], v[40:41], v[46:47], -v[52:53]
	v_fma_f64 v[40:41], v[40:41], v[44:45], v[42:43]
	v_add_f64_e32 v[44:45], v[70:71], v[74:75]
	v_add_f64_e32 v[42:43], v[66:67], v[62:63]
	;; [unrolled: 1-line block ×3, first 2 shown]
	s_delay_alu instid0(VALU_DEP_3) | instskip(SKIP_1) | instid1(VALU_DEP_4)
	v_fma_f64 v[153:154], v[44:45], -0.5, v[48:49]
	v_add_f64_e32 v[44:45], v[60:61], v[72:73]
	v_fma_f64 v[42:43], v[42:43], -0.5, v[48:49]
	s_delay_alu instid0(VALU_DEP_4) | instskip(NEXT) | instid1(VALU_DEP_3)
	v_add_f64_e32 v[46:47], v[46:47], v[60:61]
	v_fma_f64 v[155:156], v[44:45], -0.5, v[50:51]
	v_add_f64_e32 v[44:45], v[64:65], v[148:149]
	s_delay_alu instid0(VALU_DEP_3) | instskip(NEXT) | instid1(VALU_DEP_2)
	v_add_f64_e32 v[46:47], v[46:47], v[72:73]
	v_fma_f64 v[171:172], v[44:45], -0.5, v[50:51]
	v_add_f64_e32 v[44:45], v[48:49], v[70:71]
	v_add_f64_e32 v[48:49], v[40:41], v[159:160]
	;; [unrolled: 1-line block ×4, first 2 shown]
	s_delay_alu instid0(VALU_DEP_4) | instskip(NEXT) | instid1(VALU_DEP_4)
	v_add_f64_e32 v[44:45], v[44:45], v[66:67]
	v_add_f64_e32 v[48:49], v[48:49], v[163:164]
	s_delay_alu instid0(VALU_DEP_4) | instskip(NEXT) | instid1(VALU_DEP_3)
	v_add_f64_e32 v[50:51], v[50:51], v[161:162]
	v_add_f64_e32 v[44:45], v[44:45], v[62:63]
	s_delay_alu instid0(VALU_DEP_3) | instskip(NEXT) | instid1(VALU_DEP_3)
	v_add_f64_e32 v[48:49], v[48:49], v[167:168]
	v_add_f64_e32 v[50:51], v[50:51], v[165:166]
	s_delay_alu instid0(VALU_DEP_3) | instskip(NEXT) | instid1(VALU_DEP_3)
	v_add_f64_e32 v[52:53], v[44:45], v[74:75]
	v_add_f64_e32 v[48:49], v[48:49], v[68:69]
	s_delay_alu instid0(VALU_DEP_3) | instskip(NEXT) | instid1(VALU_DEP_2)
	v_add_f64_e32 v[50:51], v[50:51], v[169:170]
	v_add_f64_e32 v[44:45], v[52:53], v[48:49]
	s_delay_alu instid0(VALU_DEP_2) | instskip(SKIP_4) | instid1(VALU_DEP_1)
	v_add_f64_e32 v[46:47], v[54:55], v[50:51]
	v_add_f64_e64 v[48:49], v[52:53], -v[48:49]
	v_add_f64_e64 v[50:51], v[54:55], -v[50:51]
	;; [unrolled: 1-line block ×4, first 2 shown]
	v_add_f64_e32 v[173:174], v[52:53], v[54:55]
	v_add_f64_e64 v[52:53], v[159:160], -v[163:164]
	v_add_f64_e64 v[54:55], v[68:69], -v[167:168]
	s_delay_alu instid0(VALU_DEP_1) | instskip(SKIP_4) | instid1(VALU_DEP_3)
	v_add_f64_e32 v[175:176], v[52:53], v[54:55]
	v_add_f64_e64 v[52:53], v[70:71], -v[66:67]
	v_add_f64_e64 v[54:55], v[74:75], -v[62:63]
	;; [unrolled: 1-line block ×4, first 2 shown]
	v_add_f64_e32 v[177:178], v[52:53], v[54:55]
	v_add_f64_e64 v[52:53], v[64:65], -v[60:61]
	v_add_f64_e64 v[54:55], v[148:149], -v[72:73]
	;; [unrolled: 1-line block ×4, first 2 shown]
	v_add_f64_e32 v[74:75], v[66:67], v[62:63]
	s_delay_alu instid0(VALU_DEP_4)
	v_add_f64_e32 v[179:180], v[52:53], v[54:55]
	v_add_f64_e32 v[52:53], v[161:162], v[165:166]
	v_add_f64_e64 v[161:162], v[161:162], -v[157:158]
	v_add_f64_e32 v[157:158], v[157:158], v[169:170]
	v_add_f64_e64 v[165:166], v[165:166], -v[169:170]
	v_add_f64_e32 v[148:149], v[60:61], v[64:65]
	v_fma_f64 v[181:182], v[52:53], -0.5, v[150:151]
	v_add_f64_e32 v[52:53], v[163:164], v[167:168]
	v_add_f64_e64 v[163:164], v[163:164], -v[159:160]
	v_add_f64_e32 v[159:160], v[159:160], v[68:69]
	v_fma_f64 v[70:71], v[157:158], -0.5, v[150:151]
	v_add_f64_e64 v[68:69], v[167:168], -v[68:69]
	v_add_f64_e32 v[72:73], v[161:162], v[165:166]
	v_fma_f64 v[183:184], v[52:53], -0.5, v[40:41]
	v_fma_f64 v[52:53], v[185:186], s[14:15], v[181:182]
	v_fma_f64 v[40:41], v[159:160], -0.5, v[40:41]
	v_fma_f64 v[60:61], v[191:192], s[12:13], v[70:71]
	v_add_f64_e32 v[68:69], v[163:164], v[68:69]
	v_fma_f64 v[70:71], v[191:192], s[14:15], v[70:71]
	v_fma_f64 v[54:55], v[193:194], s[12:13], v[183:184]
	v_fma_f64 v[52:53], v[191:192], s[0:1], v[52:53]
	v_fma_f64 v[62:63], v[195:196], s[14:15], v[40:41]
	v_fma_f64 v[40:41], v[195:196], s[12:13], v[40:41]
	v_fma_f64 v[60:61], v[185:186], s[0:1], v[60:61]
	v_fma_f64 v[70:71], v[185:186], s[8:9], v[70:71]
	v_fma_f64 v[54:55], v[195:196], s[8:9], v[54:55]
	v_fma_f64 v[52:53], v[173:174], s[10:11], v[52:53]
	v_fma_f64 v[62:63], v[193:194], s[8:9], v[62:63]
	v_fma_f64 v[40:41], v[193:194], s[0:1], v[40:41]
	v_fma_f64 v[60:61], v[72:73], s[10:11], v[60:61]
	v_fma_f64 v[70:71], v[72:73], s[10:11], v[70:71]
	v_fma_f64 v[54:55], v[175:176], s[10:11], v[54:55]
	v_mul_f64_e32 v[56:57], s[8:9], v[52:53]
	v_fma_f64 v[62:63], v[68:69], s[10:11], v[62:63]
	v_fma_f64 v[40:41], v[68:69], s[10:11], v[40:41]
	;; [unrolled: 1-line block ×3, first 2 shown]
	v_mul_f64_e32 v[64:65], s[12:13], v[60:61]
	v_mul_f64_e32 v[60:61], s[10:11], v[60:61]
	;; [unrolled: 1-line block ×3, first 2 shown]
	v_fma_f64 v[56:57], v[54:55], s[20:21], v[56:57]
	v_fma_f64 v[68:69], v[197:198], s[0:1], v[68:69]
	;; [unrolled: 1-line block ×24, first 2 shown]
	v_mul_f64_e32 v[68:69], s[12:13], v[70:71]
	v_mul_f64_e32 v[70:71], s[16:17], v[70:71]
	v_add_f64_e32 v[60:61], v[150:151], v[64:65]
	v_add_f64_e64 v[64:65], v[150:151], -v[64:65]
	v_fma_f64 v[150:151], v[208:209], s[12:13], v[155:156]
	v_add_f64_e32 v[62:63], v[157:158], v[66:67]
	v_add_f64_e64 v[66:67], v[157:158], -v[66:67]
	v_add_f64_e32 v[52:53], v[212:213], v[56:57]
	v_add_f64_e32 v[54:55], v[214:215], v[58:59]
	v_add_f64_e64 v[56:57], v[212:213], -v[56:57]
	v_add_f64_e64 v[58:59], v[214:215], -v[58:59]
	v_fma_f64 v[148:149], v[40:41], s[16:17], v[68:69]
	v_fma_f64 v[40:41], v[40:41], s[14:15], v[70:71]
	v_fma_f64 v[150:151], v[210:211], s[8:9], v[150:151]
	s_delay_alu instid0(VALU_DEP_3) | instskip(NEXT) | instid1(VALU_DEP_3)
	v_add_f64_e32 v[68:69], v[72:73], v[148:149]
	v_add_f64_e32 v[70:71], v[74:75], v[40:41]
	v_add_f64_e64 v[74:75], v[74:75], -v[40:41]
	v_fma_f64 v[40:41], v[185:186], s[12:13], v[181:182]
	v_add_f64_e64 v[72:73], v[72:73], -v[148:149]
	v_fma_f64 v[148:149], v[193:194], s[14:15], v[183:184]
	v_fma_f64 v[153:154], v[179:180], s[10:11], v[150:151]
	s_delay_alu instid0(VALU_DEP_4) | instskip(NEXT) | instid1(VALU_DEP_3)
	v_fma_f64 v[40:41], v[191:192], s[8:9], v[40:41]
	v_fma_f64 v[148:149], v[195:196], s[0:1], v[148:149]
	s_delay_alu instid0(VALU_DEP_2) | instskip(NEXT) | instid1(VALU_DEP_2)
	v_fma_f64 v[40:41], v[173:174], s[10:11], v[40:41]
	v_fma_f64 v[148:149], v[175:176], s[10:11], v[148:149]
	s_delay_alu instid0(VALU_DEP_2) | instskip(SKIP_1) | instid1(VALU_DEP_2)
	v_mul_f64_e32 v[150:151], s[8:9], v[40:41]
	v_mul_f64_e32 v[40:41], s[18:19], v[40:41]
	v_fma_f64 v[155:156], v[148:149], s[18:19], v[150:151]
	s_delay_alu instid0(VALU_DEP_2) | instskip(NEXT) | instid1(VALU_DEP_2)
	v_fma_f64 v[157:158], v[148:149], s[0:1], v[40:41]
	v_add_f64_e32 v[148:149], v[42:43], v[155:156]
	s_delay_alu instid0(VALU_DEP_2)
	v_add_f64_e32 v[150:151], v[153:154], v[157:158]
	v_add_f64_e64 v[40:41], v[42:43], -v[155:156]
	v_add_f64_e64 v[42:43], v[153:154], -v[157:158]
	ds_store_b128 v202, v[44:47]
	ds_store_b128 v202, v[52:55] offset:160
	ds_store_b128 v202, v[60:63] offset:320
	ds_store_b128 v202, v[68:71] offset:480
	ds_store_b128 v202, v[48:51] offset:800
	ds_store_b128 v202, v[148:151] offset:640
	ds_store_b128 v202, v[56:59] offset:960
	ds_store_b128 v202, v[64:67] offset:1120
	ds_store_b128 v202, v[72:75] offset:1280
	ds_store_b128 v202, v[40:43] offset:1440
	global_wb scope:SCOPE_SE
	s_wait_dscnt 0x0
	s_barrier_signal -1
	s_barrier_wait -1
	global_inv scope:SCOPE_SE
	ds_load_b128 v[48:51], v199
	ds_load_b128 v[44:47], v199 offset:1440
	ds_load_b128 v[68:71], v199 offset:9600
	;; [unrolled: 1-line block ×8, first 2 shown]
	s_and_saveexec_b32 s0, vcc_lo
	s_cbranch_execz .LBB0_11
; %bb.10:
	ds_load_b128 v[40:43], v199 offset:4320
	ds_load_b128 v[140:143], v199 offset:9120
	;; [unrolled: 1-line block ×3, first 2 shown]
.LBB0_11:
	s_wait_alu 0xfffe
	s_or_b32 exec_lo, exec_lo, s0
	s_wait_dscnt 0x4
	v_mul_f64_e32 v[153:154], v[98:99], v[150:151]
	v_mul_f64_e32 v[155:156], v[90:91], v[70:71]
	;; [unrolled: 1-line block ×4, first 2 shown]
	s_wait_dscnt 0x2
	v_mul_f64_e32 v[157:158], v[94:95], v[74:75]
	v_mul_f64_e32 v[159:160], v[86:87], v[58:59]
	;; [unrolled: 1-line block ×4, first 2 shown]
	s_wait_dscnt 0x1
	v_mul_f64_e32 v[165:166], v[114:115], v[142:143]
	s_wait_dscnt 0x0
	v_mul_f64_e32 v[167:168], v[110:111], v[146:147]
	v_mul_f64_e32 v[114:115], v[114:115], v[140:141]
	;; [unrolled: 1-line block ×7, first 2 shown]
	s_mov_b32 s0, 0xe8584caa
	s_mov_b32 s1, 0xbfebb67a
	;; [unrolled: 1-line block ×3, first 2 shown]
	s_wait_alu 0xfffe
	s_mov_b32 s8, s0
	global_wb scope:SCOPE_SE
	s_barrier_signal -1
	s_barrier_wait -1
	global_inv scope:SCOPE_SE
	v_fma_f64 v[148:149], v[96:97], v[148:149], v[153:154]
	v_fma_f64 v[68:69], v[88:89], v[68:69], v[155:156]
	v_fma_f64 v[96:97], v[96:97], v[150:151], -v[98:99]
	v_fma_f64 v[70:71], v[88:89], v[70:71], -v[90:91]
	v_fma_f64 v[72:73], v[92:93], v[72:73], v[157:158]
	v_fma_f64 v[56:57], v[84:85], v[56:57], v[159:160]
	v_fma_f64 v[74:75], v[92:93], v[74:75], -v[94:95]
	v_fma_f64 v[58:59], v[84:85], v[58:59], -v[86:87]
	;; [unrolled: 4-line block ×4, first 2 shown]
	v_add_f64_e32 v[110:111], v[48:49], v[148:149]
	v_add_f64_e32 v[92:93], v[148:149], v[68:69]
	;; [unrolled: 1-line block ×3, first 2 shown]
	v_add_f64_e64 v[112:113], v[96:97], -v[70:71]
	v_add_f64_e32 v[98:99], v[72:73], v[56:57]
	v_add_f64_e32 v[96:97], v[50:51], v[96:97]
	;; [unrolled: 1-line block ×13, first 2 shown]
	v_add_f64_e64 v[74:75], v[74:75], -v[58:59]
	v_add_f64_e64 v[153:154], v[84:85], -v[86:87]
	v_fma_f64 v[48:49], v[92:93], -0.5, v[48:49]
	v_add_f64_e64 v[92:93], v[148:149], -v[68:69]
	v_fma_f64 v[50:51], v[94:95], -0.5, v[50:51]
	;; [unrolled: 2-line block ×5, first 2 shown]
	v_add_f64_e32 v[56:57], v[114:115], v[56:57]
	v_fma_f64 v[108:109], v[108:109], -0.5, v[42:43]
	v_add_f64_e32 v[58:59], v[140:141], v[58:59]
	v_fma_f64 v[100:101], v[102:103], -0.5, v[52:53]
	v_add_f64_e64 v[102:103], v[60:61], -v[64:65]
	v_fma_f64 v[104:105], v[104:105], -0.5, v[54:55]
	v_add_f64_e32 v[52:53], v[110:111], v[68:69]
	v_add_f64_e32 v[54:55], v[96:97], v[70:71]
	;; [unrolled: 1-line block ×6, first 2 shown]
	v_fma_f64 v[64:65], v[112:113], s[0:1], v[48:49]
	s_wait_alu 0xfffe
	v_fma_f64 v[68:69], v[112:113], s[8:9], v[48:49]
	v_fma_f64 v[66:67], v[92:93], s[8:9], v[50:51]
	;; [unrolled: 1-line block ×15, first 2 shown]
	ds_store_b128 v199, v[52:55]
	ds_store_b128 v199, v[64:67] offset:1600
	ds_store_b128 v199, v[68:71] offset:3200
	ds_store_b128 v204, v[56:59]
	ds_store_b128 v204, v[72:75] offset:1600
	ds_store_b128 v204, v[84:87] offset:3200
	;; [unrolled: 3-line block ×3, first 2 shown]
	s_and_saveexec_b32 s0, vcc_lo
	s_cbranch_execz .LBB0_13
; %bb.12:
	v_lshl_add_u32 v52, v190, 4, v200
	ds_store_b128 v52, v[40:43] offset:9600
	ds_store_b128 v52, v[44:47] offset:11200
	;; [unrolled: 1-line block ×3, first 2 shown]
.LBB0_13:
	s_wait_alu 0xfffe
	s_or_b32 exec_lo, exec_lo, s0
	global_wb scope:SCOPE_SE
	s_wait_dscnt 0x0
	s_barrier_signal -1
	s_barrier_wait -1
	global_inv scope:SCOPE_SE
	ds_load_b128 v[60:63], v199
	ds_load_b128 v[52:55], v199 offset:1440
	ds_load_b128 v[84:87], v199 offset:9600
	;; [unrolled: 1-line block ×8, first 2 shown]
	v_add_nc_u32_e32 v96, 0xb40, v199
	s_and_saveexec_b32 s0, vcc_lo
	s_cbranch_execz .LBB0_15
; %bb.14:
	ds_load_b128 v[40:43], v199 offset:4320
	ds_load_b128 v[44:47], v199 offset:9120
	;; [unrolled: 1-line block ×3, first 2 shown]
.LBB0_15:
	s_wait_alu 0xfffe
	s_or_b32 exec_lo, exec_lo, s0
	s_wait_dscnt 0x4
	v_mul_f64_e32 v[97:98], v[130:131], v[94:95]
	v_mul_f64_e32 v[99:100], v[122:123], v[86:87]
	;; [unrolled: 1-line block ×4, first 2 shown]
	s_wait_dscnt 0x2
	v_mul_f64_e32 v[105:106], v[126:127], v[90:91]
	v_mul_f64_e32 v[107:108], v[118:119], v[66:67]
	;; [unrolled: 1-line block ×4, first 2 shown]
	s_wait_dscnt 0x1
	v_mul_f64_e32 v[113:114], v[138:139], v[70:71]
	s_wait_dscnt 0x0
	v_mul_f64_e32 v[118:119], v[134:135], v[74:75]
	v_mul_f64_e32 v[122:123], v[138:139], v[68:69]
	;; [unrolled: 1-line block ×3, first 2 shown]
	s_mov_b32 s0, 0xe8584caa
	s_mov_b32 s1, 0xbfebb67a
	s_wait_alu 0xfffe
	s_mov_b32 s8, s0
	v_fma_f64 v[92:93], v[128:129], v[92:93], v[97:98]
	v_fma_f64 v[84:85], v[120:121], v[84:85], v[99:100]
	v_fma_f64 v[94:95], v[128:129], v[94:95], -v[101:102]
	v_fma_f64 v[86:87], v[120:121], v[86:87], -v[103:104]
	v_fma_f64 v[88:89], v[124:125], v[88:89], v[105:106]
	v_fma_f64 v[64:65], v[116:117], v[64:65], v[107:108]
	v_fma_f64 v[90:91], v[124:125], v[90:91], -v[109:110]
	v_fma_f64 v[66:67], v[116:117], v[66:67], -v[111:112]
	;; [unrolled: 4-line block ×3, first 2 shown]
	v_add_f64_e32 v[109:110], v[60:61], v[92:93]
	v_add_f64_e32 v[97:98], v[92:93], v[84:85]
	v_add_f64_e64 v[92:93], v[92:93], -v[84:85]
	v_add_f64_e32 v[99:100], v[94:95], v[86:87]
	v_add_f64_e64 v[111:112], v[94:95], -v[86:87]
	v_add_f64_e32 v[101:102], v[88:89], v[64:65]
	v_add_f64_e32 v[94:95], v[62:63], v[94:95]
	;; [unrolled: 1-line block ×9, first 2 shown]
	v_add_f64_e64 v[90:91], v[90:91], -v[66:67]
	v_add_f64_e64 v[88:89], v[88:89], -v[64:65]
	;; [unrolled: 1-line block ×4, first 2 shown]
	v_fma_f64 v[97:98], v[97:98], -0.5, v[60:61]
	v_fma_f64 v[99:100], v[99:100], -0.5, v[62:63]
	;; [unrolled: 1-line block ×3, first 2 shown]
	v_add_f64_e32 v[52:53], v[109:110], v[84:85]
	v_fma_f64 v[103:104], v[103:104], -0.5, v[54:55]
	v_add_f64_e32 v[54:55], v[94:95], v[86:87]
	v_fma_f64 v[105:106], v[105:106], -0.5, v[56:57]
	v_add_f64_e32 v[56:57], v[113:114], v[64:65]
	v_fma_f64 v[107:108], v[107:108], -0.5, v[58:59]
	v_add_f64_e32 v[58:59], v[115:116], v[66:67]
	v_add_f64_e32 v[60:61], v[117:118], v[72:73]
	v_add_f64_e32 v[62:63], v[119:120], v[74:75]
	v_fma_f64 v[64:65], v[111:112], s[0:1], v[97:98]
	s_wait_alu 0xfffe
	v_fma_f64 v[68:69], v[111:112], s[8:9], v[97:98]
	v_fma_f64 v[66:67], v[92:93], s[8:9], v[99:100]
	v_fma_f64 v[70:71], v[92:93], s[0:1], v[99:100]
	v_fma_f64 v[72:73], v[90:91], s[0:1], v[101:102]
	v_fma_f64 v[84:85], v[90:91], s[8:9], v[101:102]
	v_fma_f64 v[74:75], v[88:89], s[8:9], v[103:104]
	v_fma_f64 v[86:87], v[88:89], s[0:1], v[103:104]
	v_fma_f64 v[88:89], v[121:122], s[0:1], v[105:106]
	v_fma_f64 v[92:93], v[121:122], s[8:9], v[105:106]
	v_fma_f64 v[90:91], v[123:124], s[8:9], v[107:108]
	v_fma_f64 v[94:95], v[123:124], s[0:1], v[107:108]
	ds_store_b128 v199, v[52:55]
	ds_store_b128 v152, v[64:67] offset:4800
	ds_store_b128 v152, v[68:71] offset:9600
	;; [unrolled: 1-line block ×8, first 2 shown]
	s_and_saveexec_b32 s10, vcc_lo
	s_cbranch_execz .LBB0_17
; %bb.16:
	v_mul_f64_e32 v[52:53], v[82:83], v[44:45]
	v_mul_f64_e32 v[54:55], v[78:79], v[48:49]
	;; [unrolled: 1-line block ×4, first 2 shown]
	s_delay_alu instid0(VALU_DEP_4) | instskip(NEXT) | instid1(VALU_DEP_4)
	v_fma_f64 v[46:47], v[80:81], v[46:47], -v[52:53]
	v_fma_f64 v[50:51], v[76:77], v[50:51], -v[54:55]
	s_delay_alu instid0(VALU_DEP_4) | instskip(NEXT) | instid1(VALU_DEP_4)
	v_fma_f64 v[44:45], v[80:81], v[44:45], v[56:57]
	v_fma_f64 v[48:49], v[76:77], v[48:49], v[58:59]
	s_delay_alu instid0(VALU_DEP_4) | instskip(NEXT) | instid1(VALU_DEP_4)
	v_add_f64_e32 v[58:59], v[42:43], v[46:47]
	v_add_f64_e32 v[52:53], v[46:47], v[50:51]
	v_add_f64_e64 v[60:61], v[46:47], -v[50:51]
	s_delay_alu instid0(VALU_DEP_4)
	v_add_f64_e32 v[54:55], v[44:45], v[48:49]
	v_add_f64_e64 v[56:57], v[44:45], -v[48:49]
	v_add_f64_e32 v[44:45], v[40:41], v[44:45]
	v_fma_f64 v[52:53], v[52:53], -0.5, v[42:43]
	v_add_f64_e32 v[42:43], v[58:59], v[50:51]
	v_fma_f64 v[54:55], v[54:55], -0.5, v[40:41]
	s_delay_alu instid0(VALU_DEP_4) | instskip(NEXT) | instid1(VALU_DEP_4)
	v_add_f64_e32 v[40:41], v[44:45], v[48:49]
	v_fma_f64 v[50:51], v[56:57], s[8:9], v[52:53]
	v_fma_f64 v[46:47], v[56:57], s[0:1], v[52:53]
	s_delay_alu instid0(VALU_DEP_4)
	v_fma_f64 v[48:49], v[60:61], s[0:1], v[54:55]
	v_fma_f64 v[44:45], v[60:61], s[8:9], v[54:55]
	ds_store_b128 v199, v[40:43] offset:4320
	ds_store_b128 v152, v[48:51] offset:9120
	ds_store_b128 v152, v[44:47] offset:13920
.LBB0_17:
	s_wait_alu 0xfffe
	s_or_b32 exec_lo, exec_lo, s10
	global_wb scope:SCOPE_SE
	s_wait_dscnt 0x0
	s_barrier_signal -1
	s_barrier_wait -1
	global_inv scope:SCOPE_SE
	ds_load_b128 v[40:43], v199
	ds_load_b128 v[44:47], v199 offset:1440
	ds_load_b128 v[48:51], v199 offset:2880
	;; [unrolled: 1-line block ×9, first 2 shown]
	v_mad_co_u64_u32 v[80:81], null, s6, v188, 0
	v_mad_co_u64_u32 v[82:83], null, s4, v189, 0
	s_mul_u64 s[0:1], s[4:5], 0x5a0
	s_delay_alu instid0(VALU_DEP_1)
	v_mad_co_u64_u32 v[92:93], null, s7, v188, v[81:82]
	s_wait_dscnt 0x9
	v_mul_f64_e32 v[84:85], v[2:3], v[42:43]
	v_mul_f64_e32 v[2:3], v[2:3], v[40:41]
	s_wait_dscnt 0x8
	v_mul_f64_e32 v[86:87], v[6:7], v[46:47]
	v_mul_f64_e32 v[6:7], v[6:7], v[44:45]
	;; [unrolled: 3-line block ×5, first 2 shown]
	v_mul_f64_e32 v[93:94], v[18:19], v[58:59]
	v_mul_f64_e32 v[18:19], v[18:19], v[56:57]
	s_wait_dscnt 0x3
	v_mul_f64_e32 v[97:98], v[26:27], v[66:67]
	v_mul_f64_e32 v[26:27], v[26:27], v[64:65]
	s_wait_dscnt 0x2
	;; [unrolled: 3-line block ×4, first 2 shown]
	v_mul_f64_e32 v[103:104], v[38:39], v[78:79]
	v_mul_f64_e32 v[38:39], v[38:39], v[76:77]
	v_mov_b32_e32 v81, v92
	s_delay_alu instid0(VALU_DEP_1)
	v_lshlrev_b64_e32 v[80:81], 4, v[80:81]
	v_fma_f64 v[40:41], v[0:1], v[40:41], v[84:85]
	v_fma_f64 v[2:3], v[0:1], v[42:43], -v[2:3]
	v_fma_f64 v[42:43], v[4:5], v[44:45], v[86:87]
	v_fma_f64 v[6:7], v[4:5], v[46:47], -v[6:7]
	;; [unrolled: 2-line block ×10, first 2 shown]
	v_mad_co_u64_u32 v[105:106], null, s5, v189, v[83:84]
	v_add_co_u32 v0, vcc_lo, s2, v80
	s_wait_alu 0xfffd
	v_add_co_ci_u32_e32 v1, vcc_lo, s3, v81, vcc_lo
	s_mov_b32 s2, 0x789abcdf
	s_mov_b32 s3, 0x3f523456
	s_delay_alu instid0(VALU_DEP_3) | instskip(NEXT) | instid1(VALU_DEP_1)
	v_mov_b32_e32 v83, v105
	v_lshlrev_b64_e32 v[82:83], 4, v[82:83]
	s_delay_alu instid0(VALU_DEP_1) | instskip(SKIP_1) | instid1(VALU_DEP_2)
	v_add_co_u32 v60, vcc_lo, v0, v82
	s_wait_alu 0xfffd
	v_add_co_ci_u32_e32 v61, vcc_lo, v1, v83, vcc_lo
	s_wait_alu 0xfffe
	v_mul_f64_e32 v[0:1], s[2:3], v[40:41]
	v_add_co_u32 v62, vcc_lo, v60, s0
	s_wait_alu 0xfffd
	v_add_co_ci_u32_e32 v63, vcc_lo, s1, v61, vcc_lo
	v_mul_f64_e32 v[2:3], s[2:3], v[2:3]
	v_mul_f64_e32 v[4:5], s[2:3], v[42:43]
	;; [unrolled: 1-line block ×5, first 2 shown]
	v_add_co_u32 v64, vcc_lo, v62, s0
	v_mul_f64_e32 v[12:13], s[2:3], v[46:47]
	v_mul_f64_e32 v[14:15], s[2:3], v[14:15]
	;; [unrolled: 1-line block ×8, first 2 shown]
	s_wait_alu 0xfffd
	v_add_co_ci_u32_e32 v65, vcc_lo, s1, v63, vcc_lo
	v_mul_f64_e32 v[28:29], s[2:3], v[54:55]
	v_mul_f64_e32 v[30:31], s[2:3], v[30:31]
	;; [unrolled: 1-line block ×6, first 2 shown]
	v_add_co_u32 v40, vcc_lo, v64, s0
	s_wait_alu 0xfffd
	v_add_co_ci_u32_e32 v41, vcc_lo, s1, v65, vcc_lo
	s_delay_alu instid0(VALU_DEP_2) | instskip(SKIP_1) | instid1(VALU_DEP_2)
	v_add_co_u32 v42, vcc_lo, v40, s0
	s_wait_alu 0xfffd
	v_add_co_ci_u32_e32 v43, vcc_lo, s1, v41, vcc_lo
	s_clause 0x4
	global_store_b128 v[60:61], v[0:3], off
	global_store_b128 v[62:63], v[4:7], off
	;; [unrolled: 1-line block ×5, first 2 shown]
	v_add_co_u32 v44, vcc_lo, v42, s0
	s_wait_alu 0xfffd
	v_add_co_ci_u32_e32 v45, vcc_lo, s1, v43, vcc_lo
	s_delay_alu instid0(VALU_DEP_2) | instskip(SKIP_1) | instid1(VALU_DEP_2)
	v_add_co_u32 v46, vcc_lo, v44, s0
	s_wait_alu 0xfffd
	v_add_co_ci_u32_e32 v47, vcc_lo, s1, v45, vcc_lo
	s_delay_alu instid0(VALU_DEP_2) | instskip(SKIP_1) | instid1(VALU_DEP_2)
	;; [unrolled: 4-line block ×4, first 2 shown]
	v_add_co_u32 v0, vcc_lo, v50, s0
	s_wait_alu 0xfffd
	v_add_co_ci_u32_e32 v1, vcc_lo, s1, v51, vcc_lo
	global_store_b128 v[44:45], v[20:23], off
	global_store_b128 v[46:47], v[24:27], off
	;; [unrolled: 1-line block ×5, first 2 shown]
.LBB0_18:
	s_nop 0
	s_sendmsg sendmsg(MSG_DEALLOC_VGPRS)
	s_endpgm
	.section	.rodata,"a",@progbits
	.p2align	6, 0x0
	.amdhsa_kernel bluestein_single_fwd_len900_dim1_dp_op_CI_CI
		.amdhsa_group_segment_fixed_size 28800
		.amdhsa_private_segment_fixed_size 0
		.amdhsa_kernarg_size 104
		.amdhsa_user_sgpr_count 2
		.amdhsa_user_sgpr_dispatch_ptr 0
		.amdhsa_user_sgpr_queue_ptr 0
		.amdhsa_user_sgpr_kernarg_segment_ptr 1
		.amdhsa_user_sgpr_dispatch_id 0
		.amdhsa_user_sgpr_private_segment_size 0
		.amdhsa_wavefront_size32 1
		.amdhsa_uses_dynamic_stack 0
		.amdhsa_enable_private_segment 0
		.amdhsa_system_sgpr_workgroup_id_x 1
		.amdhsa_system_sgpr_workgroup_id_y 0
		.amdhsa_system_sgpr_workgroup_id_z 0
		.amdhsa_system_sgpr_workgroup_info 0
		.amdhsa_system_vgpr_workitem_id 0
		.amdhsa_next_free_vgpr 248
		.amdhsa_next_free_sgpr 22
		.amdhsa_reserve_vcc 1
		.amdhsa_float_round_mode_32 0
		.amdhsa_float_round_mode_16_64 0
		.amdhsa_float_denorm_mode_32 3
		.amdhsa_float_denorm_mode_16_64 3
		.amdhsa_fp16_overflow 0
		.amdhsa_workgroup_processor_mode 1
		.amdhsa_memory_ordered 1
		.amdhsa_forward_progress 0
		.amdhsa_round_robin_scheduling 0
		.amdhsa_exception_fp_ieee_invalid_op 0
		.amdhsa_exception_fp_denorm_src 0
		.amdhsa_exception_fp_ieee_div_zero 0
		.amdhsa_exception_fp_ieee_overflow 0
		.amdhsa_exception_fp_ieee_underflow 0
		.amdhsa_exception_fp_ieee_inexact 0
		.amdhsa_exception_int_div_zero 0
	.end_amdhsa_kernel
	.text
.Lfunc_end0:
	.size	bluestein_single_fwd_len900_dim1_dp_op_CI_CI, .Lfunc_end0-bluestein_single_fwd_len900_dim1_dp_op_CI_CI
                                        ; -- End function
	.section	.AMDGPU.csdata,"",@progbits
; Kernel info:
; codeLenInByte = 12984
; NumSgprs: 24
; NumVgprs: 248
; ScratchSize: 0
; MemoryBound: 0
; FloatMode: 240
; IeeeMode: 1
; LDSByteSize: 28800 bytes/workgroup (compile time only)
; SGPRBlocks: 2
; VGPRBlocks: 30
; NumSGPRsForWavesPerEU: 24
; NumVGPRsForWavesPerEU: 248
; Occupancy: 5
; WaveLimiterHint : 1
; COMPUTE_PGM_RSRC2:SCRATCH_EN: 0
; COMPUTE_PGM_RSRC2:USER_SGPR: 2
; COMPUTE_PGM_RSRC2:TRAP_HANDLER: 0
; COMPUTE_PGM_RSRC2:TGID_X_EN: 1
; COMPUTE_PGM_RSRC2:TGID_Y_EN: 0
; COMPUTE_PGM_RSRC2:TGID_Z_EN: 0
; COMPUTE_PGM_RSRC2:TIDIG_COMP_CNT: 0
	.text
	.p2alignl 7, 3214868480
	.fill 96, 4, 3214868480
	.type	__hip_cuid_ed0ff08f1866fb72,@object ; @__hip_cuid_ed0ff08f1866fb72
	.section	.bss,"aw",@nobits
	.globl	__hip_cuid_ed0ff08f1866fb72
__hip_cuid_ed0ff08f1866fb72:
	.byte	0                               ; 0x0
	.size	__hip_cuid_ed0ff08f1866fb72, 1

	.ident	"AMD clang version 19.0.0git (https://github.com/RadeonOpenCompute/llvm-project roc-6.4.0 25133 c7fe45cf4b819c5991fe208aaa96edf142730f1d)"
	.section	".note.GNU-stack","",@progbits
	.addrsig
	.addrsig_sym __hip_cuid_ed0ff08f1866fb72
	.amdgpu_metadata
---
amdhsa.kernels:
  - .args:
      - .actual_access:  read_only
        .address_space:  global
        .offset:         0
        .size:           8
        .value_kind:     global_buffer
      - .actual_access:  read_only
        .address_space:  global
        .offset:         8
        .size:           8
        .value_kind:     global_buffer
      - .actual_access:  read_only
        .address_space:  global
        .offset:         16
        .size:           8
        .value_kind:     global_buffer
      - .actual_access:  read_only
        .address_space:  global
        .offset:         24
        .size:           8
        .value_kind:     global_buffer
      - .actual_access:  read_only
        .address_space:  global
        .offset:         32
        .size:           8
        .value_kind:     global_buffer
      - .offset:         40
        .size:           8
        .value_kind:     by_value
      - .address_space:  global
        .offset:         48
        .size:           8
        .value_kind:     global_buffer
      - .address_space:  global
        .offset:         56
        .size:           8
        .value_kind:     global_buffer
      - .address_space:  global
        .offset:         64
        .size:           8
        .value_kind:     global_buffer
      - .address_space:  global
        .offset:         72
        .size:           8
        .value_kind:     global_buffer
      - .offset:         80
        .size:           4
        .value_kind:     by_value
      - .address_space:  global
        .offset:         88
        .size:           8
        .value_kind:     global_buffer
      - .address_space:  global
        .offset:         96
        .size:           8
        .value_kind:     global_buffer
    .group_segment_fixed_size: 28800
    .kernarg_segment_align: 8
    .kernarg_segment_size: 104
    .language:       OpenCL C
    .language_version:
      - 2
      - 0
    .max_flat_workgroup_size: 180
    .name:           bluestein_single_fwd_len900_dim1_dp_op_CI_CI
    .private_segment_fixed_size: 0
    .sgpr_count:     24
    .sgpr_spill_count: 0
    .symbol:         bluestein_single_fwd_len900_dim1_dp_op_CI_CI.kd
    .uniform_work_group_size: 1
    .uses_dynamic_stack: false
    .vgpr_count:     248
    .vgpr_spill_count: 0
    .wavefront_size: 32
    .workgroup_processor_mode: 1
amdhsa.target:   amdgcn-amd-amdhsa--gfx1201
amdhsa.version:
  - 1
  - 2
...

	.end_amdgpu_metadata
